;; amdgpu-corpus repo=ROCm/rccl kind=compiled arch=gfx950 opt=O3
	.amdgcn_target "amdgcn-amd-amdhsa--gfx950"
	.amdhsa_code_object_version 6
	.text
	.protected	_Z18initTestDataKernelPfmi ; -- Begin function _Z18initTestDataKernelPfmi
	.globl	_Z18initTestDataKernelPfmi
	.p2align	8
	.type	_Z18initTestDataKernelPfmi,@function
_Z18initTestDataKernelPfmi:             ; @_Z18initTestDataKernelPfmi
; %bb.0:
	s_load_dword s3, s[0:1], 0x24
	s_load_dwordx4 s[4:7], s[0:1], 0x0
	s_add_u32 s8, s0, 24
	s_addc_u32 s9, s1, 0
	s_waitcnt lgkmcnt(0)
	s_and_b32 s10, s3, 0xffff
	s_mul_i32 s3, s2, s10
	v_add_u32_e32 v2, s3, v0
	v_ashrrev_i32_e32 v3, 31, v2
	v_cmp_gt_u64_e32 vcc, s[6:7], v[2:3]
	s_and_saveexec_b64 s[12:13], vcc
	s_cbranch_execz .LBB0_3
; %bb.1:
	s_load_dword s11, s[0:1], 0x10
	s_load_dword s12, s[8:9], 0x0
	s_mov_b64 s[0:1], 0
	s_waitcnt lgkmcnt(0)
	s_mul_i32 s8, s11, 17
	s_add_i32 s2, s2, s12
	s_mul_i32 s9, s12, s10
	s_mul_i32 s2, s2, s10
	s_mov_b32 s10, 0x3531dec1
	s_movk_i32 s11, 0x4d
.LBB0_2:                                ; =>This Inner Loop Header: Depth=1
	v_add_u32_e32 v1, s3, v0
	v_mul_hi_i32 v6, v1, s10
	v_lshrrev_b32_e32 v7, 31, v6
	v_ashrrev_i32_e32 v6, 4, v6
	v_add_u32_e32 v6, v6, v7
	v_mul_lo_u32 v6, v6, s11
	v_sub_u32_e32 v1, v1, v6
	v_add_u32_e32 v1, s8, v1
	v_cvt_f32_i32_e32 v1, v1
	v_lshl_add_u64 v[4:5], v[2:3], 2, s[4:5]
	v_add_u32_e32 v2, s2, v0
	v_ashrrev_i32_e32 v3, 31, v2
	v_div_scale_f32 v6, s[12:13], v1, v1, 1.0
	v_rcp_f32_e32 v7, v6
	v_cmp_le_u64_e32 vcc, s[6:7], v[2:3]
	s_or_b64 s[0:1], vcc, s[0:1]
	v_div_scale_f32 v8, vcc, 1.0, v1, 1.0
	v_fma_f32 v9, -v6, v7, 1.0
	v_fmac_f32_e32 v7, v9, v7
	v_mul_f32_e32 v9, v8, v7
	v_fma_f32 v10, -v6, v9, v8
	v_fmac_f32_e32 v9, v10, v7
	v_fma_f32 v6, -v6, v9, v8
	v_div_fmas_f32 v6, v6, v7, v9
	v_add_u32_e32 v0, s9, v0
	v_div_fixup_f32 v1, v6, v1, 1.0
	global_store_dword v[4:5], v1, off
	s_andn2_b64 exec, exec, s[0:1]
	s_cbranch_execnz .LBB0_2
.LBB0_3:
	s_endpgm
	.section	.rodata,"a",@progbits
	.p2align	6, 0x0
	.amdhsa_kernel _Z18initTestDataKernelPfmi
		.amdhsa_group_segment_fixed_size 0
		.amdhsa_private_segment_fixed_size 0
		.amdhsa_kernarg_size 280
		.amdhsa_user_sgpr_count 2
		.amdhsa_user_sgpr_dispatch_ptr 0
		.amdhsa_user_sgpr_queue_ptr 0
		.amdhsa_user_sgpr_kernarg_segment_ptr 1
		.amdhsa_user_sgpr_dispatch_id 0
		.amdhsa_user_sgpr_kernarg_preload_length 0
		.amdhsa_user_sgpr_kernarg_preload_offset 0
		.amdhsa_user_sgpr_private_segment_size 0
		.amdhsa_uses_dynamic_stack 0
		.amdhsa_enable_private_segment 0
		.amdhsa_system_sgpr_workgroup_id_x 1
		.amdhsa_system_sgpr_workgroup_id_y 0
		.amdhsa_system_sgpr_workgroup_id_z 0
		.amdhsa_system_sgpr_workgroup_info 0
		.amdhsa_system_vgpr_workitem_id 0
		.amdhsa_next_free_vgpr 11
		.amdhsa_next_free_sgpr 14
		.amdhsa_accum_offset 12
		.amdhsa_reserve_vcc 1
		.amdhsa_float_round_mode_32 0
		.amdhsa_float_round_mode_16_64 0
		.amdhsa_float_denorm_mode_32 3
		.amdhsa_float_denorm_mode_16_64 3
		.amdhsa_dx10_clamp 1
		.amdhsa_ieee_mode 1
		.amdhsa_fp16_overflow 0
		.amdhsa_tg_split 0
		.amdhsa_exception_fp_ieee_invalid_op 0
		.amdhsa_exception_fp_denorm_src 0
		.amdhsa_exception_fp_ieee_div_zero 0
		.amdhsa_exception_fp_ieee_overflow 0
		.amdhsa_exception_fp_ieee_underflow 0
		.amdhsa_exception_fp_ieee_inexact 0
		.amdhsa_exception_int_div_zero 0
	.end_amdhsa_kernel
	.text
.Lfunc_end0:
	.size	_Z18initTestDataKernelPfmi, .Lfunc_end0-_Z18initTestDataKernelPfmi
                                        ; -- End function
	.set _Z18initTestDataKernelPfmi.num_vgpr, 11
	.set _Z18initTestDataKernelPfmi.num_agpr, 0
	.set _Z18initTestDataKernelPfmi.numbered_sgpr, 14
	.set _Z18initTestDataKernelPfmi.num_named_barrier, 0
	.set _Z18initTestDataKernelPfmi.private_seg_size, 0
	.set _Z18initTestDataKernelPfmi.uses_vcc, 1
	.set _Z18initTestDataKernelPfmi.uses_flat_scratch, 0
	.set _Z18initTestDataKernelPfmi.has_dyn_sized_stack, 0
	.set _Z18initTestDataKernelPfmi.has_recursion, 0
	.set _Z18initTestDataKernelPfmi.has_indirect_call, 0
	.section	.AMDGPU.csdata,"",@progbits
; Kernel info:
; codeLenInByte = 276
; TotalNumSgprs: 20
; NumVgprs: 11
; NumAgprs: 0
; TotalNumVgprs: 11
; ScratchSize: 0
; MemoryBound: 0
; FloatMode: 240
; IeeeMode: 1
; LDSByteSize: 0 bytes/workgroup (compile time only)
; SGPRBlocks: 2
; VGPRBlocks: 1
; NumSGPRsForWavesPerEU: 20
; NumVGPRsForWavesPerEU: 11
; AccumOffset: 12
; Occupancy: 8
; WaveLimiterHint : 0
; COMPUTE_PGM_RSRC2:SCRATCH_EN: 0
; COMPUTE_PGM_RSRC2:USER_SGPR: 2
; COMPUTE_PGM_RSRC2:TRAP_HANDLER: 0
; COMPUTE_PGM_RSRC2:TGID_X_EN: 1
; COMPUTE_PGM_RSRC2:TGID_Y_EN: 0
; COMPUTE_PGM_RSRC2:TGID_Z_EN: 0
; COMPUTE_PGM_RSRC2:TIDIG_COMP_CNT: 0
; COMPUTE_PGM_RSRC3_GFX90A:ACCUM_OFFSET: 2
; COMPUTE_PGM_RSRC3_GFX90A:TG_SPLIT: 0
	.section	.text._Z16flag_sync_kernelILi0ELi0EEvP15transfer_data_tP16profiling_data_tm,"axG",@progbits,_Z16flag_sync_kernelILi0ELi0EEvP15transfer_data_tP16profiling_data_tm,comdat
	.protected	_Z16flag_sync_kernelILi0ELi0EEvP15transfer_data_tP16profiling_data_tm ; -- Begin function _Z16flag_sync_kernelILi0ELi0EEvP15transfer_data_tP16profiling_data_tm
	.globl	_Z16flag_sync_kernelILi0ELi0EEvP15transfer_data_tP16profiling_data_tm
	.p2align	8
	.type	_Z16flag_sync_kernelILi0ELi0EEvP15transfer_data_tP16profiling_data_tm,@function
_Z16flag_sync_kernelILi0ELi0EEvP15transfer_data_tP16profiling_data_tm: ; @_Z16flag_sync_kernelILi0ELi0EEvP15transfer_data_tP16profiling_data_tm
; %bb.0:
	s_load_dwordx4 s[4:7], s[0:1], 0x0
	v_cmp_eq_u32_e64 s[0:1], 0, v0
	s_waitcnt lgkmcnt(0)
	s_load_dword s20, s[4:5], 0x8c0
	s_and_saveexec_b64 s[8:9], s[0:1]
	s_cbranch_execz .LBB1_5
; %bb.1:
	s_load_dword s10, s[4:5], 0x8c4
	s_load_dwordx2 s[14:15], s[4:5], 0x8d0
	s_mov_b64 s[12:13], src_private_base
	s_waitcnt lgkmcnt(0)
	s_ashr_i32 s11, s10, 31
	s_lshl_b64 s[10:11], s[10:11], 3
	s_add_u32 s10, s14, s10
	s_addc_u32 s11, s15, s11
	s_cmp_eq_u32 s11, s13
	s_cselect_b64 s[12:13], -1, 0
	s_andn2_b64 vcc, exec, s[12:13]
	s_mov_b64 s[12:13], -1
	s_cbranch_vccz .LBB1_3
; %bb.2:
	v_mov_b64_e32 v[2:3], 1
	v_mov_b64_e32 v[4:5], s[10:11]
	buffer_wbl2 sc0 sc1
	flat_atomic_add_x2 v[4:5], v[2:3] sc1
	s_waitcnt vmcnt(0) lgkmcnt(0)
	buffer_inv sc0 sc1
	s_mov_b64 s[12:13], 0
.LBB1_3:
	s_andn2_b64 vcc, exec, s[12:13]
	s_cbranch_vccnz .LBB1_5
; %bb.4:
	s_cmp_lg_u64 s[10:11], 0
	s_cselect_b32 s3, s10, -1
	scratch_load_dwordx2 v[2:3], off, s3
	s_waitcnt vmcnt(0)
	v_lshl_add_u64 v[2:3], v[2:3], 0, 1
	scratch_store_dwordx2 off, v[2:3], s3
.LBB1_5:
	s_or_b64 exec, exec, s[8:9]
	s_waitcnt lgkmcnt(0)
	s_barrier
                                        ; implicit-def: $sgpr8_sgpr9
	s_and_saveexec_b64 s[10:11], s[0:1]
; %bb.6:
	s_memrealtime s[8:9]
; %bb.7:
	s_or_b64 exec, exec, s[10:11]
	s_ashr_i32 s3, s2, 31
	s_cmp_lt_i32 s20, 1
	s_cbranch_scc1 .LBB1_30
; %bb.8:
	s_lshl_b64 s[10:11], s[2:3], 3
	s_add_u32 s4, s4, s10
	s_addc_u32 s5, s5, s11
	v_mov_b32_e32 v1, 0
	global_load_dwordx2 v[2:3], v1, s[4:5] offset:448
	global_load_dwordx2 v[4:5], v1, s[4:5]
	v_lshrrev_b32_e32 v1, 6, v0
	v_and_b32_e32 v7, 63, v0
	s_mov_b32 s4, 0
	s_waitcnt vmcnt(0)
	v_or_b32_e32 v6, v4, v2
	v_and_b32_e32 v6, 3, v6
	v_cmp_eq_u32_e32 vcc, 0, v6
	v_lshl_or_b32 v6, v1, 9, v7
	s_cbranch_vccnz .LBB1_19
; %bb.9:
	v_lshl_or_b32 v1, v1, 9, v7
	s_mov_b64 s[10:11], -1
	s_cbranch_execnz .LBB1_20
.LBB1_10:
	s_lshr_b32 s4, s20, 2
	s_and_b32 s21, s4, 0x1ffffe00
	v_cmp_gt_u32_e32 vcc, s21, v6
	s_and_saveexec_b64 s[12:13], vcc
	s_cbranch_execz .LBB1_13
; %bb.11:
	v_lshlrev_b32_e32 v10, 4, v6
	v_mov_b32_e32 v11, 0
	v_lshl_add_u64 v[8:9], v[4:5], 0, v[10:11]
	v_lshl_add_u64 v[10:11], v[2:3], 0, v[10:11]
	s_mov_b64 s[14:15], 0
	s_mov_b64 s[16:17], 0x1000
	;; [unrolled: 1-line block ×3, first 2 shown]
	v_mov_b32_e32 v1, v6
.LBB1_12:                               ; =>This Inner Loop Header: Depth=1
	flat_load_dwordx4 v[12:15], v[10:11] nt
	flat_load_dwordx4 v[16:19], v[10:11] offset:1024 nt
	flat_load_dwordx4 v[20:23], v[10:11] offset:2048 nt
	;; [unrolled: 1-line block ×3, first 2 shown]
	v_lshl_add_u64 v[44:45], v[10:11], 0, s[16:17]
	v_add_co_u32_e32 v46, vcc, 0x1000, v10
	v_add_u32_e32 v1, 0x800, v1
	s_nop 0
	v_addc_co_u32_e32 v47, vcc, 0, v11, vcc
	flat_load_dwordx4 v[28:31], v[44:45] offset:1024 nt
	flat_load_dwordx4 v[32:35], v[44:45] offset:2048 nt
	flat_load_dwordx4 v[36:39], v[46:47] nt
	flat_load_dwordx4 v[40:43], v[44:45] offset:3072 nt
	v_add_co_u32_e32 v46, vcc, 0x1000, v8
	v_cmp_le_u32_e64 s[4:5], s21, v1
	v_lshl_add_u64 v[44:45], v[8:9], 0, s[16:17]
	v_lshl_add_u64 v[10:11], v[10:11], 0, s[18:19]
	v_addc_co_u32_e32 v47, vcc, 0, v9, vcc
	s_or_b64 s[14:15], s[4:5], s[14:15]
	s_waitcnt vmcnt(0) lgkmcnt(0)
	flat_store_dwordx4 v[8:9], v[12:15] nt
	flat_store_dwordx4 v[8:9], v[16:19] offset:1024 nt
	flat_store_dwordx4 v[8:9], v[20:23] offset:2048 nt
	;; [unrolled: 1-line block ×3, first 2 shown]
	v_lshl_add_u64 v[8:9], v[8:9], 0, s[18:19]
	flat_store_dwordx4 v[44:45], v[28:31] offset:1024 nt
	flat_store_dwordx4 v[44:45], v[32:35] offset:2048 nt
	flat_store_dwordx4 v[46:47], v[36:39] nt
	flat_store_dwordx4 v[44:45], v[40:43] offset:3072 nt
	s_andn2_b64 exec, exec, s[14:15]
	s_cbranch_execnz .LBB1_12
.LBB1_13:
	s_or_b64 exec, exec, s[12:13]
	s_lshl_b32 s4, s21, 2
	s_cmp_eq_u32 s20, s4
	s_cbranch_scc1 .LBB1_21
; %bb.14:
	s_sub_i32 s18, s20, s4
	s_ashr_i32 s19, s18, 2
	v_cmp_gt_i32_e32 vcc, s19, v0
	s_and_saveexec_b64 s[12:13], vcc
	s_cbranch_execz .LBB1_17
; %bb.15:
	s_mov_b32 s5, 0
	s_lshl_b64 s[14:15], s[4:5], 2
	v_lshl_add_u64 v[8:9], v[4:5], 0, s[14:15]
	v_lshlrev_b32_e32 v10, 4, v0
	v_mov_b32_e32 v11, 0
	v_lshl_add_u64 v[12:13], v[2:3], 0, s[14:15]
	v_lshl_add_u64 v[8:9], v[8:9], 0, v[10:11]
	;; [unrolled: 1-line block ×3, first 2 shown]
	s_mov_b64 s[14:15], 0
	s_mov_b64 s[16:17], 0x1000
	v_mov_b32_e32 v1, v0
.LBB1_16:                               ; =>This Inner Loop Header: Depth=1
	flat_load_dwordx4 v[12:15], v[10:11] nt
	v_add_u32_e32 v1, 0x100, v1
	v_cmp_le_i32_e32 vcc, s19, v1
	v_lshl_add_u64 v[10:11], v[10:11], 0, s[16:17]
	s_or_b64 s[14:15], vcc, s[14:15]
	s_waitcnt vmcnt(0) lgkmcnt(0)
	flat_store_dwordx4 v[8:9], v[12:15]
	v_lshl_add_u64 v[8:9], v[8:9], 0, s[16:17]
	s_andn2_b64 exec, exec, s[14:15]
	s_cbranch_execnz .LBB1_16
.LBB1_17:
	s_or_b64 exec, exec, s[12:13]
	s_and_b32 s16, s20, 3
	s_cmp_eq_u32 s16, 0
	s_cbranch_scc1 .LBB1_22
; %bb.18:
	s_and_b32 s5, s18, -4
	s_add_i32 s4, s5, s4
	s_cbranch_execnz .LBB1_23
	s_branch .LBB1_30
.LBB1_19:
	s_mov_b64 s[10:11], 0
                                        ; implicit-def: $vgpr1
	s_branch .LBB1_10
.LBB1_20:
	s_mov_b32 s16, s20
	v_mov_b32_e32 v6, v1
	s_and_b64 vcc, exec, s[10:11]
	s_cbranch_vccnz .LBB1_23
	s_branch .LBB1_30
.LBB1_21:
                                        ; implicit-def: $sgpr16
.LBB1_22:
                                        ; implicit-def: $sgpr4
	s_and_b64 vcc, exec, s[10:11]
	s_cbranch_vccz .LBB1_30
.LBB1_23:
	s_and_b32 s17, s16, 0x7ffffe00
	v_cmp_gt_u32_e32 vcc, s17, v6
	s_and_saveexec_b64 s[10:11], vcc
	s_cbranch_execz .LBB1_26
; %bb.24:
	s_ashr_i32 s5, s4, 31
	s_lshl_b64 s[12:13], s[4:5], 2
	v_mov_b32_e32 v7, 0
	v_lshl_add_u64 v[8:9], v[4:5], 0, s[12:13]
	v_lshlrev_b64 v[10:11], 2, v[6:7]
	v_lshl_add_u64 v[12:13], v[2:3], 0, s[12:13]
	v_lshl_add_u64 v[8:9], v[8:9], 0, v[10:11]
	;; [unrolled: 1-line block ×3, first 2 shown]
	s_mov_b64 s[12:13], 0
	s_mov_b64 s[14:15], 0x2000
.LBB1_25:                               ; =>This Inner Loop Header: Depth=1
	flat_load_dword v1, v[10:11] nt
	flat_load_dword v7, v[10:11] offset:256 nt
	flat_load_dword v12, v[10:11] offset:512 nt
	;; [unrolled: 1-line block ×7, first 2 shown]
	v_add_u32_e32 v6, 0x800, v6
	v_cmp_le_u32_e32 vcc, s17, v6
	v_lshl_add_u64 v[10:11], v[10:11], 0, s[14:15]
	s_or_b64 s[12:13], vcc, s[12:13]
	s_waitcnt vmcnt(0) lgkmcnt(0)
	flat_store_dword v[8:9], v1 nt
	flat_store_dword v[8:9], v7 offset:256 nt
	flat_store_dword v[8:9], v12 offset:512 nt
	;; [unrolled: 1-line block ×7, first 2 shown]
	v_lshl_add_u64 v[8:9], v[8:9], 0, s[14:15]
	s_andn2_b64 exec, exec, s[12:13]
	s_cbranch_execnz .LBB1_25
.LBB1_26:
	s_or_b64 exec, exec, s[10:11]
	s_and_b32 s14, s16, 0x1ff
	s_cmp_lg_u32 s14, 0
	s_cselect_b64 s[10:11], -1, 0
	v_cmp_gt_u32_e32 vcc, s14, v0
	s_and_b64 s[12:13], s[10:11], vcc
	s_and_saveexec_b64 s[10:11], s[12:13]
	s_cbranch_execz .LBB1_29
; %bb.27:
	s_add_i32 s4, s17, s4
	s_ashr_i32 s5, s4, 31
	s_lshl_b64 s[4:5], s[4:5], 2
	v_lshl_add_u64 v[4:5], v[4:5], 0, s[4:5]
	v_lshlrev_b32_e32 v6, 2, v0
	v_mov_b32_e32 v7, 0
	v_lshl_add_u64 v[2:3], v[2:3], 0, s[4:5]
	v_lshl_add_u64 v[4:5], v[4:5], 0, v[6:7]
	;; [unrolled: 1-line block ×3, first 2 shown]
	s_mov_b64 s[4:5], 0
	s_mov_b64 s[12:13], 0x400
.LBB1_28:                               ; =>This Inner Loop Header: Depth=1
	flat_load_dword v1, v[2:3] nt
	v_add_u32_e32 v0, 0x100, v0
	v_cmp_le_u32_e32 vcc, s14, v0
	v_lshl_add_u64 v[2:3], v[2:3], 0, s[12:13]
	s_or_b64 s[4:5], vcc, s[4:5]
	s_waitcnt vmcnt(0) lgkmcnt(0)
	flat_store_dword v[4:5], v1 nt
	v_lshl_add_u64 v[4:5], v[4:5], 0, s[12:13]
	s_andn2_b64 exec, exec, s[4:5]
	s_cbranch_execnz .LBB1_28
.LBB1_29:
	s_or_b64 exec, exec, s[10:11]
.LBB1_30:
	s_waitcnt lgkmcnt(0)
	s_barrier
	s_and_saveexec_b64 s[4:5], s[0:1]
	s_cbranch_execz .LBB1_35
; %bb.31:
	s_memrealtime s[10:11]
	s_mov_b64 s[4:5], exec
	s_lshl_b64 s[0:1], s[2:3], 3
	v_mbcnt_lo_u32_b32 v0, s4, 0
	s_add_u32 s0, s6, s0
	v_mbcnt_hi_u32_b32 v0, s5, v0
	s_addc_u32 s1, s7, s1
	v_cmp_eq_u32_e32 vcc, 0, v0
	s_and_saveexec_b64 s[2:3], vcc
	s_cbranch_execz .LBB1_33
; %bb.32:
	s_waitcnt lgkmcnt(0)
	s_sub_u32 s6, s10, s8
	s_subb_u32 s7, s11, s9
	s_bcnt1_i32_b64 s4, s[4:5]
	s_mul_i32 s7, s7, s4
	s_mul_hi_u32 s5, s6, s4
	s_add_i32 s5, s5, s7
	s_mul_i32 s6, s6, s4
	v_mov_b32_e32 v0, s6
	v_mov_b32_e32 v1, s5
	;; [unrolled: 1-line block ×3, first 2 shown]
	buffer_wbl2 sc0 sc1
	s_waitcnt vmcnt(0)
	global_atomic_add_x2 v2, v[0:1], s[0:1] sc1
	s_waitcnt vmcnt(0)
	buffer_inv sc0 sc1
.LBB1_33:
	s_or_b64 exec, exec, s[2:3]
	s_mov_b64 s[2:3], exec
	v_mbcnt_lo_u32_b32 v0, s2, 0
	v_mbcnt_hi_u32_b32 v0, s3, v0
	v_cmp_eq_u32_e32 vcc, 0, v0
	s_and_b64 s[4:5], exec, vcc
	s_mov_b64 exec, s[4:5]
	s_cbranch_execz .LBB1_35
; %bb.34:
	s_bcnt1_i32_b64 s2, s[2:3]
	s_mul_hi_i32 s3, s20, s2
	s_mul_i32 s2, s20, s2
	s_lshl_b64 s[2:3], s[2:3], 2
	v_mov_b32_e32 v0, 0
	v_mov_b64_e32 v[2:3], s[2:3]
	buffer_wbl2 sc0 sc1
	s_waitcnt vmcnt(0) lgkmcnt(0)
	global_atomic_add_x2 v0, v[2:3], s[0:1] offset:448 sc1
	s_waitcnt vmcnt(0)
	buffer_inv sc0 sc1
.LBB1_35:
	s_endpgm
	.section	.rodata,"a",@progbits
	.p2align	6, 0x0
	.amdhsa_kernel _Z16flag_sync_kernelILi0ELi0EEvP15transfer_data_tP16profiling_data_tm
		.amdhsa_group_segment_fixed_size 0
		.amdhsa_private_segment_fixed_size 0
		.amdhsa_kernarg_size 24
		.amdhsa_user_sgpr_count 2
		.amdhsa_user_sgpr_dispatch_ptr 0
		.amdhsa_user_sgpr_queue_ptr 0
		.amdhsa_user_sgpr_kernarg_segment_ptr 1
		.amdhsa_user_sgpr_dispatch_id 0
		.amdhsa_user_sgpr_kernarg_preload_length 0
		.amdhsa_user_sgpr_kernarg_preload_offset 0
		.amdhsa_user_sgpr_private_segment_size 0
		.amdhsa_uses_dynamic_stack 0
		.amdhsa_enable_private_segment 0
		.amdhsa_system_sgpr_workgroup_id_x 1
		.amdhsa_system_sgpr_workgroup_id_y 0
		.amdhsa_system_sgpr_workgroup_id_z 0
		.amdhsa_system_sgpr_workgroup_info 0
		.amdhsa_system_vgpr_workitem_id 0
		.amdhsa_next_free_vgpr 48
		.amdhsa_next_free_sgpr 22
		.amdhsa_accum_offset 48
		.amdhsa_reserve_vcc 1
		.amdhsa_float_round_mode_32 0
		.amdhsa_float_round_mode_16_64 0
		.amdhsa_float_denorm_mode_32 3
		.amdhsa_float_denorm_mode_16_64 3
		.amdhsa_dx10_clamp 1
		.amdhsa_ieee_mode 1
		.amdhsa_fp16_overflow 0
		.amdhsa_tg_split 0
		.amdhsa_exception_fp_ieee_invalid_op 0
		.amdhsa_exception_fp_denorm_src 0
		.amdhsa_exception_fp_ieee_div_zero 0
		.amdhsa_exception_fp_ieee_overflow 0
		.amdhsa_exception_fp_ieee_underflow 0
		.amdhsa_exception_fp_ieee_inexact 0
		.amdhsa_exception_int_div_zero 0
	.end_amdhsa_kernel
	.section	.text._Z16flag_sync_kernelILi0ELi0EEvP15transfer_data_tP16profiling_data_tm,"axG",@progbits,_Z16flag_sync_kernelILi0ELi0EEvP15transfer_data_tP16profiling_data_tm,comdat
.Lfunc_end1:
	.size	_Z16flag_sync_kernelILi0ELi0EEvP15transfer_data_tP16profiling_data_tm, .Lfunc_end1-_Z16flag_sync_kernelILi0ELi0EEvP15transfer_data_tP16profiling_data_tm
                                        ; -- End function
	.set _Z16flag_sync_kernelILi0ELi0EEvP15transfer_data_tP16profiling_data_tm.num_vgpr, 48
	.set _Z16flag_sync_kernelILi0ELi0EEvP15transfer_data_tP16profiling_data_tm.num_agpr, 0
	.set _Z16flag_sync_kernelILi0ELi0EEvP15transfer_data_tP16profiling_data_tm.numbered_sgpr, 22
	.set _Z16flag_sync_kernelILi0ELi0EEvP15transfer_data_tP16profiling_data_tm.num_named_barrier, 0
	.set _Z16flag_sync_kernelILi0ELi0EEvP15transfer_data_tP16profiling_data_tm.private_seg_size, 0
	.set _Z16flag_sync_kernelILi0ELi0EEvP15transfer_data_tP16profiling_data_tm.uses_vcc, 1
	.set _Z16flag_sync_kernelILi0ELi0EEvP15transfer_data_tP16profiling_data_tm.uses_flat_scratch, 0
	.set _Z16flag_sync_kernelILi0ELi0EEvP15transfer_data_tP16profiling_data_tm.has_dyn_sized_stack, 0
	.set _Z16flag_sync_kernelILi0ELi0EEvP15transfer_data_tP16profiling_data_tm.has_recursion, 0
	.set _Z16flag_sync_kernelILi0ELi0EEvP15transfer_data_tP16profiling_data_tm.has_indirect_call, 0
	.section	.AMDGPU.csdata,"",@progbits
; Kernel info:
; codeLenInByte = 1492
; TotalNumSgprs: 28
; NumVgprs: 48
; NumAgprs: 0
; TotalNumVgprs: 48
; ScratchSize: 0
; MemoryBound: 0
; FloatMode: 240
; IeeeMode: 1
; LDSByteSize: 0 bytes/workgroup (compile time only)
; SGPRBlocks: 3
; VGPRBlocks: 5
; NumSGPRsForWavesPerEU: 28
; NumVGPRsForWavesPerEU: 48
; AccumOffset: 48
; Occupancy: 8
; WaveLimiterHint : 1
; COMPUTE_PGM_RSRC2:SCRATCH_EN: 0
; COMPUTE_PGM_RSRC2:USER_SGPR: 2
; COMPUTE_PGM_RSRC2:TRAP_HANDLER: 0
; COMPUTE_PGM_RSRC2:TGID_X_EN: 1
; COMPUTE_PGM_RSRC2:TGID_Y_EN: 0
; COMPUTE_PGM_RSRC2:TGID_Z_EN: 0
; COMPUTE_PGM_RSRC2:TIDIG_COMP_CNT: 0
; COMPUTE_PGM_RSRC3_GFX90A:ACCUM_OFFSET: 11
; COMPUTE_PGM_RSRC3_GFX90A:TG_SPLIT: 0
	.section	.text._Z16flag_sync_kernelILi0ELi1EEvP15transfer_data_tP16profiling_data_tm,"axG",@progbits,_Z16flag_sync_kernelILi0ELi1EEvP15transfer_data_tP16profiling_data_tm,comdat
	.protected	_Z16flag_sync_kernelILi0ELi1EEvP15transfer_data_tP16profiling_data_tm ; -- Begin function _Z16flag_sync_kernelILi0ELi1EEvP15transfer_data_tP16profiling_data_tm
	.globl	_Z16flag_sync_kernelILi0ELi1EEvP15transfer_data_tP16profiling_data_tm
	.p2align	8
	.type	_Z16flag_sync_kernelILi0ELi1EEvP15transfer_data_tP16profiling_data_tm,@function
_Z16flag_sync_kernelILi0ELi1EEvP15transfer_data_tP16profiling_data_tm: ; @_Z16flag_sync_kernelILi0ELi1EEvP15transfer_data_tP16profiling_data_tm
; %bb.0:
	s_load_dwordx4 s[4:7], s[0:1], 0x0
	s_load_dwordx2 s[8:9], s[0:1], 0x10
	v_cmp_eq_u32_e64 s[0:1], 0, v0
	s_waitcnt lgkmcnt(0)
	s_load_dword s20, s[4:5], 0x8c0
	s_and_saveexec_b64 s[10:11], s[0:1]
	s_cbranch_execz .LBB2_10
; %bb.1:
	s_load_dword s12, s[4:5], 0x8c4
	s_load_dwordx2 s[16:17], s[4:5], 0x8d0
	s_mov_b64 s[14:15], src_private_base
	s_waitcnt lgkmcnt(0)
	s_ashr_i32 s13, s12, 31
	s_lshl_b64 s[12:13], s[12:13], 3
	s_add_u32 s12, s16, s12
	s_addc_u32 s13, s17, s13
	s_cmp_eq_u32 s13, s15
	s_cselect_b64 s[14:15], -1, 0
	s_andn2_b64 vcc, exec, s[14:15]
	s_mov_b64 s[14:15], -1
	s_cbranch_vccz .LBB2_3
; %bb.2:
	v_mov_b64_e32 v[2:3], 1
	v_mov_b64_e32 v[4:5], s[12:13]
	buffer_wbl2 sc0 sc1
	flat_atomic_add_x2 v[4:5], v[2:3] sc1
	s_waitcnt vmcnt(0) lgkmcnt(0)
	buffer_inv sc0 sc1
	s_mov_b64 s[14:15], 0
.LBB2_3:
	s_andn2_b64 vcc, exec, s[14:15]
	s_cbranch_vccnz .LBB2_5
; %bb.4:
	s_cmp_lg_u64 s[12:13], 0
	s_cselect_b32 s3, s12, -1
	scratch_load_dwordx2 v[2:3], off, s3
	s_waitcnt vmcnt(0)
	v_lshl_add_u64 v[2:3], v[2:3], 0, 1
	scratch_store_dwordx2 off, v[2:3], s3
.LBB2_5:
	v_mov_b32_e32 v1, 0
	global_load_dword v2, v1, s[4:5] offset:2248
	s_waitcnt vmcnt(0)
	v_cmp_gt_i32_e32 vcc, 1, v2
	s_cbranch_vccnz .LBB2_10
; %bb.6:
	s_mov_b32 s13, 0
	s_mov_b32 s12, s13
.LBB2_7:                                ; =>This Loop Header: Depth=1
                                        ;     Child Loop BB2_8 Depth 2
	s_mov_b64 s[14:15], 0
	s_lshl_b64 s[16:17], s[12:13], 3
.LBB2_8:                                ;   Parent Loop BB2_7 Depth=1
                                        ; =>  This Inner Loop Header: Depth=2
	global_load_dwordx2 v[2:3], v1, s[4:5] offset:2256
	s_waitcnt vmcnt(0)
	v_lshl_add_u64 v[2:3], v[2:3], 0, s[16:17]
	flat_load_dwordx2 v[2:3], v[2:3] sc0 sc1
	s_waitcnt vmcnt(0) lgkmcnt(0)
	buffer_inv sc0 sc1
	v_cmp_le_u64_e32 vcc, s[8:9], v[2:3]
	s_or_b64 s[14:15], vcc, s[14:15]
	s_andn2_b64 exec, exec, s[14:15]
	s_cbranch_execnz .LBB2_8
; %bb.9:                                ;   in Loop: Header=BB2_7 Depth=1
	s_or_b64 exec, exec, s[14:15]
	global_load_dword v2, v1, s[4:5] offset:2248
	s_add_i32 s12, s12, 1
	s_waitcnt vmcnt(0)
	v_cmp_lt_i32_e32 vcc, s12, v2
	s_cbranch_vccnz .LBB2_7
.LBB2_10:
	s_or_b64 exec, exec, s[10:11]
	s_waitcnt lgkmcnt(0)
	s_barrier
                                        ; implicit-def: $sgpr8_sgpr9
	s_and_saveexec_b64 s[10:11], s[0:1]
; %bb.11:
	s_memrealtime s[8:9]
; %bb.12:
	s_or_b64 exec, exec, s[10:11]
	s_ashr_i32 s3, s2, 31
	s_cmp_lt_i32 s20, 1
	s_cbranch_scc1 .LBB2_35
; %bb.13:
	s_lshl_b64 s[10:11], s[2:3], 3
	s_add_u32 s4, s4, s10
	s_addc_u32 s5, s5, s11
	v_mov_b32_e32 v1, 0
	global_load_dwordx2 v[2:3], v1, s[4:5] offset:448
	global_load_dwordx2 v[4:5], v1, s[4:5]
	v_lshrrev_b32_e32 v1, 6, v0
	v_and_b32_e32 v7, 63, v0
	s_mov_b32 s4, 0
	s_waitcnt vmcnt(0)
	v_or_b32_e32 v6, v4, v2
	v_and_b32_e32 v6, 3, v6
	v_cmp_eq_u32_e32 vcc, 0, v6
	v_lshl_or_b32 v6, v1, 9, v7
	s_cbranch_vccnz .LBB2_24
; %bb.14:
	v_lshl_or_b32 v1, v1, 9, v7
	s_mov_b64 s[10:11], -1
	s_cbranch_execnz .LBB2_25
.LBB2_15:
	s_lshr_b32 s4, s20, 2
	s_and_b32 s21, s4, 0x1ffffe00
	v_cmp_gt_u32_e32 vcc, s21, v6
	s_and_saveexec_b64 s[12:13], vcc
	s_cbranch_execz .LBB2_18
; %bb.16:
	v_lshlrev_b32_e32 v10, 4, v6
	v_mov_b32_e32 v11, 0
	v_lshl_add_u64 v[8:9], v[4:5], 0, v[10:11]
	v_lshl_add_u64 v[10:11], v[2:3], 0, v[10:11]
	s_mov_b64 s[14:15], 0
	s_mov_b64 s[16:17], 0x1000
	;; [unrolled: 1-line block ×3, first 2 shown]
	v_mov_b32_e32 v1, v6
.LBB2_17:                               ; =>This Inner Loop Header: Depth=1
	flat_load_dwordx4 v[12:15], v[10:11] nt
	flat_load_dwordx4 v[16:19], v[10:11] offset:1024 nt
	flat_load_dwordx4 v[20:23], v[10:11] offset:2048 nt
	;; [unrolled: 1-line block ×3, first 2 shown]
	v_lshl_add_u64 v[44:45], v[10:11], 0, s[16:17]
	v_add_co_u32_e32 v46, vcc, 0x1000, v10
	v_add_u32_e32 v1, 0x800, v1
	s_nop 0
	v_addc_co_u32_e32 v47, vcc, 0, v11, vcc
	flat_load_dwordx4 v[28:31], v[44:45] offset:1024 nt
	flat_load_dwordx4 v[32:35], v[44:45] offset:2048 nt
	flat_load_dwordx4 v[36:39], v[46:47] nt
	flat_load_dwordx4 v[40:43], v[44:45] offset:3072 nt
	v_add_co_u32_e32 v46, vcc, 0x1000, v8
	v_cmp_le_u32_e64 s[4:5], s21, v1
	v_lshl_add_u64 v[44:45], v[8:9], 0, s[16:17]
	v_lshl_add_u64 v[10:11], v[10:11], 0, s[18:19]
	v_addc_co_u32_e32 v47, vcc, 0, v9, vcc
	s_or_b64 s[14:15], s[4:5], s[14:15]
	s_waitcnt vmcnt(0) lgkmcnt(0)
	flat_store_dwordx4 v[8:9], v[12:15] nt
	flat_store_dwordx4 v[8:9], v[16:19] offset:1024 nt
	flat_store_dwordx4 v[8:9], v[20:23] offset:2048 nt
	;; [unrolled: 1-line block ×3, first 2 shown]
	v_lshl_add_u64 v[8:9], v[8:9], 0, s[18:19]
	flat_store_dwordx4 v[44:45], v[28:31] offset:1024 nt
	flat_store_dwordx4 v[44:45], v[32:35] offset:2048 nt
	flat_store_dwordx4 v[46:47], v[36:39] nt
	flat_store_dwordx4 v[44:45], v[40:43] offset:3072 nt
	s_andn2_b64 exec, exec, s[14:15]
	s_cbranch_execnz .LBB2_17
.LBB2_18:
	s_or_b64 exec, exec, s[12:13]
	s_lshl_b32 s4, s21, 2
	s_cmp_eq_u32 s20, s4
	s_cbranch_scc1 .LBB2_26
; %bb.19:
	s_sub_i32 s18, s20, s4
	s_ashr_i32 s19, s18, 2
	v_cmp_gt_i32_e32 vcc, s19, v0
	s_and_saveexec_b64 s[12:13], vcc
	s_cbranch_execz .LBB2_22
; %bb.20:
	s_mov_b32 s5, 0
	s_lshl_b64 s[14:15], s[4:5], 2
	v_lshl_add_u64 v[8:9], v[4:5], 0, s[14:15]
	v_lshlrev_b32_e32 v10, 4, v0
	v_mov_b32_e32 v11, 0
	v_lshl_add_u64 v[12:13], v[2:3], 0, s[14:15]
	v_lshl_add_u64 v[8:9], v[8:9], 0, v[10:11]
	;; [unrolled: 1-line block ×3, first 2 shown]
	s_mov_b64 s[14:15], 0
	s_mov_b64 s[16:17], 0x1000
	v_mov_b32_e32 v1, v0
.LBB2_21:                               ; =>This Inner Loop Header: Depth=1
	flat_load_dwordx4 v[12:15], v[10:11] nt
	v_add_u32_e32 v1, 0x100, v1
	v_cmp_le_i32_e32 vcc, s19, v1
	v_lshl_add_u64 v[10:11], v[10:11], 0, s[16:17]
	s_or_b64 s[14:15], vcc, s[14:15]
	s_waitcnt vmcnt(0) lgkmcnt(0)
	flat_store_dwordx4 v[8:9], v[12:15]
	v_lshl_add_u64 v[8:9], v[8:9], 0, s[16:17]
	s_andn2_b64 exec, exec, s[14:15]
	s_cbranch_execnz .LBB2_21
.LBB2_22:
	s_or_b64 exec, exec, s[12:13]
	s_and_b32 s16, s20, 3
	s_cmp_eq_u32 s16, 0
	s_cbranch_scc1 .LBB2_27
; %bb.23:
	s_and_b32 s5, s18, -4
	s_add_i32 s4, s5, s4
	s_cbranch_execnz .LBB2_28
	s_branch .LBB2_35
.LBB2_24:
	s_mov_b64 s[10:11], 0
                                        ; implicit-def: $vgpr1
	s_branch .LBB2_15
.LBB2_25:
	s_mov_b32 s16, s20
	v_mov_b32_e32 v6, v1
	s_and_b64 vcc, exec, s[10:11]
	s_cbranch_vccnz .LBB2_28
	s_branch .LBB2_35
.LBB2_26:
                                        ; implicit-def: $sgpr16
.LBB2_27:
                                        ; implicit-def: $sgpr4
	s_and_b64 vcc, exec, s[10:11]
	s_cbranch_vccz .LBB2_35
.LBB2_28:
	s_and_b32 s17, s16, 0x7ffffe00
	v_cmp_gt_u32_e32 vcc, s17, v6
	s_and_saveexec_b64 s[10:11], vcc
	s_cbranch_execz .LBB2_31
; %bb.29:
	s_ashr_i32 s5, s4, 31
	s_lshl_b64 s[12:13], s[4:5], 2
	v_mov_b32_e32 v7, 0
	v_lshl_add_u64 v[8:9], v[4:5], 0, s[12:13]
	v_lshlrev_b64 v[10:11], 2, v[6:7]
	v_lshl_add_u64 v[12:13], v[2:3], 0, s[12:13]
	v_lshl_add_u64 v[8:9], v[8:9], 0, v[10:11]
	v_lshl_add_u64 v[10:11], v[12:13], 0, v[10:11]
	s_mov_b64 s[12:13], 0
	s_mov_b64 s[14:15], 0x2000
.LBB2_30:                               ; =>This Inner Loop Header: Depth=1
	flat_load_dword v1, v[10:11] nt
	flat_load_dword v7, v[10:11] offset:256 nt
	flat_load_dword v12, v[10:11] offset:512 nt
	flat_load_dword v13, v[10:11] offset:768 nt
	flat_load_dword v14, v[10:11] offset:1024 nt
	flat_load_dword v15, v[10:11] offset:1280 nt
	flat_load_dword v16, v[10:11] offset:1536 nt
	flat_load_dword v17, v[10:11] offset:1792 nt
	v_add_u32_e32 v6, 0x800, v6
	v_cmp_le_u32_e32 vcc, s17, v6
	v_lshl_add_u64 v[10:11], v[10:11], 0, s[14:15]
	s_or_b64 s[12:13], vcc, s[12:13]
	s_waitcnt vmcnt(0) lgkmcnt(0)
	flat_store_dword v[8:9], v1 nt
	flat_store_dword v[8:9], v7 offset:256 nt
	flat_store_dword v[8:9], v12 offset:512 nt
	;; [unrolled: 1-line block ×7, first 2 shown]
	v_lshl_add_u64 v[8:9], v[8:9], 0, s[14:15]
	s_andn2_b64 exec, exec, s[12:13]
	s_cbranch_execnz .LBB2_30
.LBB2_31:
	s_or_b64 exec, exec, s[10:11]
	s_and_b32 s14, s16, 0x1ff
	s_cmp_lg_u32 s14, 0
	s_cselect_b64 s[10:11], -1, 0
	v_cmp_gt_u32_e32 vcc, s14, v0
	s_and_b64 s[12:13], s[10:11], vcc
	s_and_saveexec_b64 s[10:11], s[12:13]
	s_cbranch_execz .LBB2_34
; %bb.32:
	s_add_i32 s4, s17, s4
	s_ashr_i32 s5, s4, 31
	s_lshl_b64 s[4:5], s[4:5], 2
	v_lshl_add_u64 v[4:5], v[4:5], 0, s[4:5]
	v_lshlrev_b32_e32 v6, 2, v0
	v_mov_b32_e32 v7, 0
	v_lshl_add_u64 v[2:3], v[2:3], 0, s[4:5]
	v_lshl_add_u64 v[4:5], v[4:5], 0, v[6:7]
	v_lshl_add_u64 v[2:3], v[2:3], 0, v[6:7]
	s_mov_b64 s[4:5], 0
	s_mov_b64 s[12:13], 0x400
.LBB2_33:                               ; =>This Inner Loop Header: Depth=1
	flat_load_dword v1, v[2:3] nt
	v_add_u32_e32 v0, 0x100, v0
	v_cmp_le_u32_e32 vcc, s14, v0
	v_lshl_add_u64 v[2:3], v[2:3], 0, s[12:13]
	s_or_b64 s[4:5], vcc, s[4:5]
	s_waitcnt vmcnt(0) lgkmcnt(0)
	flat_store_dword v[4:5], v1 nt
	v_lshl_add_u64 v[4:5], v[4:5], 0, s[12:13]
	s_andn2_b64 exec, exec, s[4:5]
	s_cbranch_execnz .LBB2_33
.LBB2_34:
	s_or_b64 exec, exec, s[10:11]
.LBB2_35:
	s_waitcnt lgkmcnt(0)
	s_barrier
	s_and_saveexec_b64 s[4:5], s[0:1]
	s_cbranch_execz .LBB2_40
; %bb.36:
	s_memrealtime s[10:11]
	s_mov_b64 s[4:5], exec
	s_lshl_b64 s[0:1], s[2:3], 3
	v_mbcnt_lo_u32_b32 v0, s4, 0
	s_add_u32 s0, s6, s0
	v_mbcnt_hi_u32_b32 v0, s5, v0
	s_addc_u32 s1, s7, s1
	v_cmp_eq_u32_e32 vcc, 0, v0
	s_and_saveexec_b64 s[2:3], vcc
	s_cbranch_execz .LBB2_38
; %bb.37:
	s_waitcnt lgkmcnt(0)
	s_sub_u32 s6, s10, s8
	s_subb_u32 s7, s11, s9
	s_bcnt1_i32_b64 s4, s[4:5]
	s_mul_i32 s7, s7, s4
	s_mul_hi_u32 s5, s6, s4
	s_add_i32 s5, s5, s7
	s_mul_i32 s6, s6, s4
	v_mov_b32_e32 v0, s6
	v_mov_b32_e32 v1, s5
	;; [unrolled: 1-line block ×3, first 2 shown]
	buffer_wbl2 sc0 sc1
	s_waitcnt vmcnt(0)
	global_atomic_add_x2 v2, v[0:1], s[0:1] sc1
	s_waitcnt vmcnt(0)
	buffer_inv sc0 sc1
.LBB2_38:
	s_or_b64 exec, exec, s[2:3]
	s_mov_b64 s[2:3], exec
	v_mbcnt_lo_u32_b32 v0, s2, 0
	v_mbcnt_hi_u32_b32 v0, s3, v0
	v_cmp_eq_u32_e32 vcc, 0, v0
	s_and_b64 s[4:5], exec, vcc
	s_mov_b64 exec, s[4:5]
	s_cbranch_execz .LBB2_40
; %bb.39:
	s_bcnt1_i32_b64 s2, s[2:3]
	s_mul_hi_i32 s3, s20, s2
	s_mul_i32 s2, s20, s2
	s_lshl_b64 s[2:3], s[2:3], 2
	v_mov_b32_e32 v0, 0
	v_mov_b64_e32 v[2:3], s[2:3]
	buffer_wbl2 sc0 sc1
	s_waitcnt vmcnt(0) lgkmcnt(0)
	global_atomic_add_x2 v0, v[2:3], s[0:1] offset:448 sc1
	s_waitcnt vmcnt(0)
	buffer_inv sc0 sc1
.LBB2_40:
	s_endpgm
	.section	.rodata,"a",@progbits
	.p2align	6, 0x0
	.amdhsa_kernel _Z16flag_sync_kernelILi0ELi1EEvP15transfer_data_tP16profiling_data_tm
		.amdhsa_group_segment_fixed_size 0
		.amdhsa_private_segment_fixed_size 0
		.amdhsa_kernarg_size 24
		.amdhsa_user_sgpr_count 2
		.amdhsa_user_sgpr_dispatch_ptr 0
		.amdhsa_user_sgpr_queue_ptr 0
		.amdhsa_user_sgpr_kernarg_segment_ptr 1
		.amdhsa_user_sgpr_dispatch_id 0
		.amdhsa_user_sgpr_kernarg_preload_length 0
		.amdhsa_user_sgpr_kernarg_preload_offset 0
		.amdhsa_user_sgpr_private_segment_size 0
		.amdhsa_uses_dynamic_stack 0
		.amdhsa_enable_private_segment 0
		.amdhsa_system_sgpr_workgroup_id_x 1
		.amdhsa_system_sgpr_workgroup_id_y 0
		.amdhsa_system_sgpr_workgroup_id_z 0
		.amdhsa_system_sgpr_workgroup_info 0
		.amdhsa_system_vgpr_workitem_id 0
		.amdhsa_next_free_vgpr 48
		.amdhsa_next_free_sgpr 22
		.amdhsa_accum_offset 48
		.amdhsa_reserve_vcc 1
		.amdhsa_float_round_mode_32 0
		.amdhsa_float_round_mode_16_64 0
		.amdhsa_float_denorm_mode_32 3
		.amdhsa_float_denorm_mode_16_64 3
		.amdhsa_dx10_clamp 1
		.amdhsa_ieee_mode 1
		.amdhsa_fp16_overflow 0
		.amdhsa_tg_split 0
		.amdhsa_exception_fp_ieee_invalid_op 0
		.amdhsa_exception_fp_denorm_src 0
		.amdhsa_exception_fp_ieee_div_zero 0
		.amdhsa_exception_fp_ieee_overflow 0
		.amdhsa_exception_fp_ieee_underflow 0
		.amdhsa_exception_fp_ieee_inexact 0
		.amdhsa_exception_int_div_zero 0
	.end_amdhsa_kernel
	.section	.text._Z16flag_sync_kernelILi0ELi1EEvP15transfer_data_tP16profiling_data_tm,"axG",@progbits,_Z16flag_sync_kernelILi0ELi1EEvP15transfer_data_tP16profiling_data_tm,comdat
.Lfunc_end2:
	.size	_Z16flag_sync_kernelILi0ELi1EEvP15transfer_data_tP16profiling_data_tm, .Lfunc_end2-_Z16flag_sync_kernelILi0ELi1EEvP15transfer_data_tP16profiling_data_tm
                                        ; -- End function
	.set _Z16flag_sync_kernelILi0ELi1EEvP15transfer_data_tP16profiling_data_tm.num_vgpr, 48
	.set _Z16flag_sync_kernelILi0ELi1EEvP15transfer_data_tP16profiling_data_tm.num_agpr, 0
	.set _Z16flag_sync_kernelILi0ELi1EEvP15transfer_data_tP16profiling_data_tm.numbered_sgpr, 22
	.set _Z16flag_sync_kernelILi0ELi1EEvP15transfer_data_tP16profiling_data_tm.num_named_barrier, 0
	.set _Z16flag_sync_kernelILi0ELi1EEvP15transfer_data_tP16profiling_data_tm.private_seg_size, 0
	.set _Z16flag_sync_kernelILi0ELi1EEvP15transfer_data_tP16profiling_data_tm.uses_vcc, 1
	.set _Z16flag_sync_kernelILi0ELi1EEvP15transfer_data_tP16profiling_data_tm.uses_flat_scratch, 0
	.set _Z16flag_sync_kernelILi0ELi1EEvP15transfer_data_tP16profiling_data_tm.has_dyn_sized_stack, 0
	.set _Z16flag_sync_kernelILi0ELi1EEvP15transfer_data_tP16profiling_data_tm.has_recursion, 0
	.set _Z16flag_sync_kernelILi0ELi1EEvP15transfer_data_tP16profiling_data_tm.has_indirect_call, 0
	.section	.AMDGPU.csdata,"",@progbits
; Kernel info:
; codeLenInByte = 1624
; TotalNumSgprs: 28
; NumVgprs: 48
; NumAgprs: 0
; TotalNumVgprs: 48
; ScratchSize: 0
; MemoryBound: 0
; FloatMode: 240
; IeeeMode: 1
; LDSByteSize: 0 bytes/workgroup (compile time only)
; SGPRBlocks: 3
; VGPRBlocks: 5
; NumSGPRsForWavesPerEU: 28
; NumVGPRsForWavesPerEU: 48
; AccumOffset: 48
; Occupancy: 8
; WaveLimiterHint : 1
; COMPUTE_PGM_RSRC2:SCRATCH_EN: 0
; COMPUTE_PGM_RSRC2:USER_SGPR: 2
; COMPUTE_PGM_RSRC2:TRAP_HANDLER: 0
; COMPUTE_PGM_RSRC2:TGID_X_EN: 1
; COMPUTE_PGM_RSRC2:TGID_Y_EN: 0
; COMPUTE_PGM_RSRC2:TGID_Z_EN: 0
; COMPUTE_PGM_RSRC2:TIDIG_COMP_CNT: 0
; COMPUTE_PGM_RSRC3_GFX90A:ACCUM_OFFSET: 11
; COMPUTE_PGM_RSRC3_GFX90A:TG_SPLIT: 0
	.section	.text._Z16flag_sync_kernelILi1ELi0EEvP15transfer_data_tP16profiling_data_tm,"axG",@progbits,_Z16flag_sync_kernelILi1ELi0EEvP15transfer_data_tP16profiling_data_tm,comdat
	.protected	_Z16flag_sync_kernelILi1ELi0EEvP15transfer_data_tP16profiling_data_tm ; -- Begin function _Z16flag_sync_kernelILi1ELi0EEvP15transfer_data_tP16profiling_data_tm
	.globl	_Z16flag_sync_kernelILi1ELi0EEvP15transfer_data_tP16profiling_data_tm
	.p2align	8
	.type	_Z16flag_sync_kernelILi1ELi0EEvP15transfer_data_tP16profiling_data_tm,@function
_Z16flag_sync_kernelILi1ELi0EEvP15transfer_data_tP16profiling_data_tm: ; @_Z16flag_sync_kernelILi1ELi0EEvP15transfer_data_tP16profiling_data_tm
; %bb.0:
	s_load_dwordx4 s[4:7], s[0:1], 0x0
	v_cmp_eq_u32_e64 s[0:1], 0, v0
	s_waitcnt lgkmcnt(0)
	s_load_dword s20, s[4:5], 0x8c0
	s_and_saveexec_b64 s[8:9], s[0:1]
	s_cbranch_execz .LBB3_5
; %bb.1:
	s_load_dword s10, s[4:5], 0x8c4
	s_load_dwordx2 s[14:15], s[4:5], 0x8d0
	s_mov_b64 s[12:13], src_private_base
	s_waitcnt lgkmcnt(0)
	s_ashr_i32 s11, s10, 31
	s_lshl_b64 s[10:11], s[10:11], 3
	s_add_u32 s10, s14, s10
	s_addc_u32 s11, s15, s11
	s_cmp_eq_u32 s11, s13
	s_cselect_b64 s[12:13], -1, 0
	s_andn2_b64 vcc, exec, s[12:13]
	s_mov_b64 s[12:13], -1
	s_cbranch_vccz .LBB3_3
; %bb.2:
	v_mov_b64_e32 v[2:3], 1
	v_mov_b64_e32 v[4:5], s[10:11]
	buffer_wbl2 sc0 sc1
	flat_atomic_add_x2 v[4:5], v[2:3] sc1
	s_waitcnt vmcnt(0) lgkmcnt(0)
	buffer_inv sc0 sc1
	s_mov_b64 s[12:13], 0
.LBB3_3:
	s_andn2_b64 vcc, exec, s[12:13]
	s_cbranch_vccnz .LBB3_5
; %bb.4:
	s_cmp_lg_u64 s[10:11], 0
	s_cselect_b32 s3, s10, -1
	scratch_load_dwordx2 v[2:3], off, s3
	s_waitcnt vmcnt(0)
	v_lshl_add_u64 v[2:3], v[2:3], 0, 1
	scratch_store_dwordx2 off, v[2:3], s3
.LBB3_5:
	s_or_b64 exec, exec, s[8:9]
	s_waitcnt lgkmcnt(0)
	s_barrier
                                        ; implicit-def: $sgpr8_sgpr9
	s_and_saveexec_b64 s[10:11], s[0:1]
; %bb.6:
	s_memrealtime s[8:9]
; %bb.7:
	s_or_b64 exec, exec, s[10:11]
	s_ashr_i32 s3, s2, 31
	s_cmp_lt_i32 s20, 1
	s_cbranch_scc1 .LBB3_30
; %bb.8:
	s_lshl_b64 s[10:11], s[2:3], 3
	s_add_u32 s4, s4, s10
	s_addc_u32 s5, s5, s11
	v_mov_b32_e32 v1, 0
	global_load_dwordx2 v[2:3], v1, s[4:5] offset:448
	global_load_dwordx2 v[4:5], v1, s[4:5] offset:896
	v_lshrrev_b32_e32 v1, 6, v0
	v_and_b32_e32 v7, 63, v0
	s_mov_b32 s4, 0
	s_waitcnt vmcnt(0)
	v_or_b32_e32 v6, v4, v2
	v_and_b32_e32 v6, 3, v6
	v_cmp_eq_u32_e32 vcc, 0, v6
	v_lshl_or_b32 v6, v1, 9, v7
	s_cbranch_vccnz .LBB3_19
; %bb.9:
	v_lshl_or_b32 v1, v1, 9, v7
	s_mov_b64 s[10:11], -1
	s_cbranch_execnz .LBB3_20
.LBB3_10:
	s_lshr_b32 s4, s20, 2
	s_and_b32 s21, s4, 0x1ffffe00
	v_cmp_gt_u32_e32 vcc, s21, v6
	s_and_saveexec_b64 s[12:13], vcc
	s_cbranch_execz .LBB3_13
; %bb.11:
	v_lshlrev_b32_e32 v10, 4, v6
	v_mov_b32_e32 v11, 0
	v_lshl_add_u64 v[8:9], v[4:5], 0, v[10:11]
	v_lshl_add_u64 v[10:11], v[2:3], 0, v[10:11]
	s_mov_b64 s[14:15], 0
	s_mov_b64 s[16:17], 0x1000
	;; [unrolled: 1-line block ×3, first 2 shown]
	v_mov_b32_e32 v1, v6
.LBB3_12:                               ; =>This Inner Loop Header: Depth=1
	flat_load_dwordx4 v[12:15], v[10:11] nt
	flat_load_dwordx4 v[16:19], v[10:11] offset:1024 nt
	flat_load_dwordx4 v[20:23], v[10:11] offset:2048 nt
	;; [unrolled: 1-line block ×3, first 2 shown]
	v_lshl_add_u64 v[44:45], v[10:11], 0, s[16:17]
	v_add_co_u32_e32 v46, vcc, 0x1000, v10
	v_add_u32_e32 v1, 0x800, v1
	s_nop 0
	v_addc_co_u32_e32 v47, vcc, 0, v11, vcc
	flat_load_dwordx4 v[28:31], v[44:45] offset:1024 nt
	flat_load_dwordx4 v[32:35], v[44:45] offset:2048 nt
	flat_load_dwordx4 v[36:39], v[46:47] nt
	flat_load_dwordx4 v[40:43], v[44:45] offset:3072 nt
	v_add_co_u32_e32 v46, vcc, 0x1000, v8
	v_cmp_le_u32_e64 s[4:5], s21, v1
	v_lshl_add_u64 v[44:45], v[8:9], 0, s[16:17]
	v_lshl_add_u64 v[10:11], v[10:11], 0, s[18:19]
	v_addc_co_u32_e32 v47, vcc, 0, v9, vcc
	s_or_b64 s[14:15], s[4:5], s[14:15]
	s_waitcnt vmcnt(0) lgkmcnt(0)
	flat_store_dwordx4 v[8:9], v[12:15] nt
	flat_store_dwordx4 v[8:9], v[16:19] offset:1024 nt
	flat_store_dwordx4 v[8:9], v[20:23] offset:2048 nt
	flat_store_dwordx4 v[8:9], v[24:27] offset:3072 nt
	v_lshl_add_u64 v[8:9], v[8:9], 0, s[18:19]
	flat_store_dwordx4 v[44:45], v[28:31] offset:1024 nt
	flat_store_dwordx4 v[44:45], v[32:35] offset:2048 nt
	flat_store_dwordx4 v[46:47], v[36:39] nt
	flat_store_dwordx4 v[44:45], v[40:43] offset:3072 nt
	s_andn2_b64 exec, exec, s[14:15]
	s_cbranch_execnz .LBB3_12
.LBB3_13:
	s_or_b64 exec, exec, s[12:13]
	s_lshl_b32 s4, s21, 2
	s_cmp_eq_u32 s20, s4
	s_cbranch_scc1 .LBB3_21
; %bb.14:
	s_sub_i32 s18, s20, s4
	s_ashr_i32 s19, s18, 2
	v_cmp_gt_i32_e32 vcc, s19, v0
	s_and_saveexec_b64 s[12:13], vcc
	s_cbranch_execz .LBB3_17
; %bb.15:
	s_mov_b32 s5, 0
	s_lshl_b64 s[14:15], s[4:5], 2
	v_lshl_add_u64 v[8:9], v[4:5], 0, s[14:15]
	v_lshlrev_b32_e32 v10, 4, v0
	v_mov_b32_e32 v11, 0
	v_lshl_add_u64 v[12:13], v[2:3], 0, s[14:15]
	v_lshl_add_u64 v[8:9], v[8:9], 0, v[10:11]
	;; [unrolled: 1-line block ×3, first 2 shown]
	s_mov_b64 s[14:15], 0
	s_mov_b64 s[16:17], 0x1000
	v_mov_b32_e32 v1, v0
.LBB3_16:                               ; =>This Inner Loop Header: Depth=1
	flat_load_dwordx4 v[12:15], v[10:11] nt
	v_add_u32_e32 v1, 0x100, v1
	v_cmp_le_i32_e32 vcc, s19, v1
	v_lshl_add_u64 v[10:11], v[10:11], 0, s[16:17]
	s_or_b64 s[14:15], vcc, s[14:15]
	s_waitcnt vmcnt(0) lgkmcnt(0)
	flat_store_dwordx4 v[8:9], v[12:15]
	v_lshl_add_u64 v[8:9], v[8:9], 0, s[16:17]
	s_andn2_b64 exec, exec, s[14:15]
	s_cbranch_execnz .LBB3_16
.LBB3_17:
	s_or_b64 exec, exec, s[12:13]
	s_and_b32 s16, s20, 3
	s_cmp_eq_u32 s16, 0
	s_cbranch_scc1 .LBB3_22
; %bb.18:
	s_and_b32 s5, s18, -4
	s_add_i32 s4, s5, s4
	s_cbranch_execnz .LBB3_23
	s_branch .LBB3_30
.LBB3_19:
	s_mov_b64 s[10:11], 0
                                        ; implicit-def: $vgpr1
	s_branch .LBB3_10
.LBB3_20:
	s_mov_b32 s16, s20
	v_mov_b32_e32 v6, v1
	s_and_b64 vcc, exec, s[10:11]
	s_cbranch_vccnz .LBB3_23
	s_branch .LBB3_30
.LBB3_21:
                                        ; implicit-def: $sgpr16
.LBB3_22:
                                        ; implicit-def: $sgpr4
	s_and_b64 vcc, exec, s[10:11]
	s_cbranch_vccz .LBB3_30
.LBB3_23:
	s_and_b32 s17, s16, 0x7ffffe00
	v_cmp_gt_u32_e32 vcc, s17, v6
	s_and_saveexec_b64 s[10:11], vcc
	s_cbranch_execz .LBB3_26
; %bb.24:
	s_ashr_i32 s5, s4, 31
	s_lshl_b64 s[12:13], s[4:5], 2
	v_mov_b32_e32 v7, 0
	v_lshl_add_u64 v[8:9], v[4:5], 0, s[12:13]
	v_lshlrev_b64 v[10:11], 2, v[6:7]
	v_lshl_add_u64 v[12:13], v[2:3], 0, s[12:13]
	v_lshl_add_u64 v[8:9], v[8:9], 0, v[10:11]
	;; [unrolled: 1-line block ×3, first 2 shown]
	s_mov_b64 s[12:13], 0
	s_mov_b64 s[14:15], 0x2000
.LBB3_25:                               ; =>This Inner Loop Header: Depth=1
	flat_load_dword v1, v[10:11] nt
	flat_load_dword v7, v[10:11] offset:256 nt
	flat_load_dword v12, v[10:11] offset:512 nt
	flat_load_dword v13, v[10:11] offset:768 nt
	flat_load_dword v14, v[10:11] offset:1024 nt
	flat_load_dword v15, v[10:11] offset:1280 nt
	flat_load_dword v16, v[10:11] offset:1536 nt
	flat_load_dword v17, v[10:11] offset:1792 nt
	v_add_u32_e32 v6, 0x800, v6
	v_cmp_le_u32_e32 vcc, s17, v6
	v_lshl_add_u64 v[10:11], v[10:11], 0, s[14:15]
	s_or_b64 s[12:13], vcc, s[12:13]
	s_waitcnt vmcnt(0) lgkmcnt(0)
	flat_store_dword v[8:9], v1 nt
	flat_store_dword v[8:9], v7 offset:256 nt
	flat_store_dword v[8:9], v12 offset:512 nt
	;; [unrolled: 1-line block ×7, first 2 shown]
	v_lshl_add_u64 v[8:9], v[8:9], 0, s[14:15]
	s_andn2_b64 exec, exec, s[12:13]
	s_cbranch_execnz .LBB3_25
.LBB3_26:
	s_or_b64 exec, exec, s[10:11]
	s_and_b32 s14, s16, 0x1ff
	s_cmp_lg_u32 s14, 0
	s_cselect_b64 s[10:11], -1, 0
	v_cmp_gt_u32_e32 vcc, s14, v0
	s_and_b64 s[12:13], s[10:11], vcc
	s_and_saveexec_b64 s[10:11], s[12:13]
	s_cbranch_execz .LBB3_29
; %bb.27:
	s_add_i32 s4, s17, s4
	s_ashr_i32 s5, s4, 31
	s_lshl_b64 s[4:5], s[4:5], 2
	v_lshl_add_u64 v[4:5], v[4:5], 0, s[4:5]
	v_lshlrev_b32_e32 v6, 2, v0
	v_mov_b32_e32 v7, 0
	v_lshl_add_u64 v[2:3], v[2:3], 0, s[4:5]
	v_lshl_add_u64 v[4:5], v[4:5], 0, v[6:7]
	;; [unrolled: 1-line block ×3, first 2 shown]
	s_mov_b64 s[4:5], 0
	s_mov_b64 s[12:13], 0x400
.LBB3_28:                               ; =>This Inner Loop Header: Depth=1
	flat_load_dword v1, v[2:3] nt
	v_add_u32_e32 v0, 0x100, v0
	v_cmp_le_u32_e32 vcc, s14, v0
	v_lshl_add_u64 v[2:3], v[2:3], 0, s[12:13]
	s_or_b64 s[4:5], vcc, s[4:5]
	s_waitcnt vmcnt(0) lgkmcnt(0)
	flat_store_dword v[4:5], v1 nt
	v_lshl_add_u64 v[4:5], v[4:5], 0, s[12:13]
	s_andn2_b64 exec, exec, s[4:5]
	s_cbranch_execnz .LBB3_28
.LBB3_29:
	s_or_b64 exec, exec, s[10:11]
.LBB3_30:
	s_waitcnt lgkmcnt(0)
	s_barrier
	s_and_saveexec_b64 s[4:5], s[0:1]
	s_cbranch_execz .LBB3_35
; %bb.31:
	s_memrealtime s[10:11]
	s_mov_b64 s[4:5], exec
	s_lshl_b64 s[0:1], s[2:3], 3
	v_mbcnt_lo_u32_b32 v0, s4, 0
	s_add_u32 s0, s6, s0
	v_mbcnt_hi_u32_b32 v0, s5, v0
	s_addc_u32 s1, s7, s1
	v_cmp_eq_u32_e32 vcc, 0, v0
	s_and_saveexec_b64 s[2:3], vcc
	s_cbranch_execz .LBB3_33
; %bb.32:
	s_waitcnt lgkmcnt(0)
	s_sub_u32 s6, s10, s8
	s_subb_u32 s7, s11, s9
	s_bcnt1_i32_b64 s4, s[4:5]
	s_mul_i32 s7, s7, s4
	s_mul_hi_u32 s5, s6, s4
	s_add_i32 s5, s5, s7
	s_mul_i32 s6, s6, s4
	v_mov_b32_e32 v0, s6
	v_mov_b32_e32 v1, s5
	v_mov_b32_e32 v2, 0
	buffer_wbl2 sc0 sc1
	s_waitcnt vmcnt(0)
	global_atomic_add_x2 v2, v[0:1], s[0:1] sc1
	s_waitcnt vmcnt(0)
	buffer_inv sc0 sc1
.LBB3_33:
	s_or_b64 exec, exec, s[2:3]
	s_mov_b64 s[2:3], exec
	v_mbcnt_lo_u32_b32 v0, s2, 0
	v_mbcnt_hi_u32_b32 v0, s3, v0
	v_cmp_eq_u32_e32 vcc, 0, v0
	s_and_b64 s[4:5], exec, vcc
	s_mov_b64 exec, s[4:5]
	s_cbranch_execz .LBB3_35
; %bb.34:
	s_bcnt1_i32_b64 s2, s[2:3]
	s_mul_hi_i32 s3, s20, s2
	s_mul_i32 s2, s20, s2
	s_lshl_b64 s[2:3], s[2:3], 2
	v_mov_b32_e32 v0, 0
	v_mov_b64_e32 v[2:3], s[2:3]
	buffer_wbl2 sc0 sc1
	s_waitcnt vmcnt(0) lgkmcnt(0)
	global_atomic_add_x2 v0, v[2:3], s[0:1] offset:448 sc1
	s_waitcnt vmcnt(0)
	buffer_inv sc0 sc1
.LBB3_35:
	s_endpgm
	.section	.rodata,"a",@progbits
	.p2align	6, 0x0
	.amdhsa_kernel _Z16flag_sync_kernelILi1ELi0EEvP15transfer_data_tP16profiling_data_tm
		.amdhsa_group_segment_fixed_size 0
		.amdhsa_private_segment_fixed_size 0
		.amdhsa_kernarg_size 24
		.amdhsa_user_sgpr_count 2
		.amdhsa_user_sgpr_dispatch_ptr 0
		.amdhsa_user_sgpr_queue_ptr 0
		.amdhsa_user_sgpr_kernarg_segment_ptr 1
		.amdhsa_user_sgpr_dispatch_id 0
		.amdhsa_user_sgpr_kernarg_preload_length 0
		.amdhsa_user_sgpr_kernarg_preload_offset 0
		.amdhsa_user_sgpr_private_segment_size 0
		.amdhsa_uses_dynamic_stack 0
		.amdhsa_enable_private_segment 0
		.amdhsa_system_sgpr_workgroup_id_x 1
		.amdhsa_system_sgpr_workgroup_id_y 0
		.amdhsa_system_sgpr_workgroup_id_z 0
		.amdhsa_system_sgpr_workgroup_info 0
		.amdhsa_system_vgpr_workitem_id 0
		.amdhsa_next_free_vgpr 48
		.amdhsa_next_free_sgpr 22
		.amdhsa_accum_offset 48
		.amdhsa_reserve_vcc 1
		.amdhsa_float_round_mode_32 0
		.amdhsa_float_round_mode_16_64 0
		.amdhsa_float_denorm_mode_32 3
		.amdhsa_float_denorm_mode_16_64 3
		.amdhsa_dx10_clamp 1
		.amdhsa_ieee_mode 1
		.amdhsa_fp16_overflow 0
		.amdhsa_tg_split 0
		.amdhsa_exception_fp_ieee_invalid_op 0
		.amdhsa_exception_fp_denorm_src 0
		.amdhsa_exception_fp_ieee_div_zero 0
		.amdhsa_exception_fp_ieee_overflow 0
		.amdhsa_exception_fp_ieee_underflow 0
		.amdhsa_exception_fp_ieee_inexact 0
		.amdhsa_exception_int_div_zero 0
	.end_amdhsa_kernel
	.section	.text._Z16flag_sync_kernelILi1ELi0EEvP15transfer_data_tP16profiling_data_tm,"axG",@progbits,_Z16flag_sync_kernelILi1ELi0EEvP15transfer_data_tP16profiling_data_tm,comdat
.Lfunc_end3:
	.size	_Z16flag_sync_kernelILi1ELi0EEvP15transfer_data_tP16profiling_data_tm, .Lfunc_end3-_Z16flag_sync_kernelILi1ELi0EEvP15transfer_data_tP16profiling_data_tm
                                        ; -- End function
	.set _Z16flag_sync_kernelILi1ELi0EEvP15transfer_data_tP16profiling_data_tm.num_vgpr, 48
	.set _Z16flag_sync_kernelILi1ELi0EEvP15transfer_data_tP16profiling_data_tm.num_agpr, 0
	.set _Z16flag_sync_kernelILi1ELi0EEvP15transfer_data_tP16profiling_data_tm.numbered_sgpr, 22
	.set _Z16flag_sync_kernelILi1ELi0EEvP15transfer_data_tP16profiling_data_tm.num_named_barrier, 0
	.set _Z16flag_sync_kernelILi1ELi0EEvP15transfer_data_tP16profiling_data_tm.private_seg_size, 0
	.set _Z16flag_sync_kernelILi1ELi0EEvP15transfer_data_tP16profiling_data_tm.uses_vcc, 1
	.set _Z16flag_sync_kernelILi1ELi0EEvP15transfer_data_tP16profiling_data_tm.uses_flat_scratch, 0
	.set _Z16flag_sync_kernelILi1ELi0EEvP15transfer_data_tP16profiling_data_tm.has_dyn_sized_stack, 0
	.set _Z16flag_sync_kernelILi1ELi0EEvP15transfer_data_tP16profiling_data_tm.has_recursion, 0
	.set _Z16flag_sync_kernelILi1ELi0EEvP15transfer_data_tP16profiling_data_tm.has_indirect_call, 0
	.section	.AMDGPU.csdata,"",@progbits
; Kernel info:
; codeLenInByte = 1492
; TotalNumSgprs: 28
; NumVgprs: 48
; NumAgprs: 0
; TotalNumVgprs: 48
; ScratchSize: 0
; MemoryBound: 0
; FloatMode: 240
; IeeeMode: 1
; LDSByteSize: 0 bytes/workgroup (compile time only)
; SGPRBlocks: 3
; VGPRBlocks: 5
; NumSGPRsForWavesPerEU: 28
; NumVGPRsForWavesPerEU: 48
; AccumOffset: 48
; Occupancy: 8
; WaveLimiterHint : 1
; COMPUTE_PGM_RSRC2:SCRATCH_EN: 0
; COMPUTE_PGM_RSRC2:USER_SGPR: 2
; COMPUTE_PGM_RSRC2:TRAP_HANDLER: 0
; COMPUTE_PGM_RSRC2:TGID_X_EN: 1
; COMPUTE_PGM_RSRC2:TGID_Y_EN: 0
; COMPUTE_PGM_RSRC2:TGID_Z_EN: 0
; COMPUTE_PGM_RSRC2:TIDIG_COMP_CNT: 0
; COMPUTE_PGM_RSRC3_GFX90A:ACCUM_OFFSET: 11
; COMPUTE_PGM_RSRC3_GFX90A:TG_SPLIT: 0
	.section	.text._Z16flag_sync_kernelILi1ELi1EEvP15transfer_data_tP16profiling_data_tm,"axG",@progbits,_Z16flag_sync_kernelILi1ELi1EEvP15transfer_data_tP16profiling_data_tm,comdat
	.protected	_Z16flag_sync_kernelILi1ELi1EEvP15transfer_data_tP16profiling_data_tm ; -- Begin function _Z16flag_sync_kernelILi1ELi1EEvP15transfer_data_tP16profiling_data_tm
	.globl	_Z16flag_sync_kernelILi1ELi1EEvP15transfer_data_tP16profiling_data_tm
	.p2align	8
	.type	_Z16flag_sync_kernelILi1ELi1EEvP15transfer_data_tP16profiling_data_tm,@function
_Z16flag_sync_kernelILi1ELi1EEvP15transfer_data_tP16profiling_data_tm: ; @_Z16flag_sync_kernelILi1ELi1EEvP15transfer_data_tP16profiling_data_tm
; %bb.0:
	s_load_dwordx4 s[4:7], s[0:1], 0x0
	s_load_dwordx2 s[8:9], s[0:1], 0x10
	v_cmp_eq_u32_e64 s[0:1], 0, v0
	s_waitcnt lgkmcnt(0)
	s_load_dword s20, s[4:5], 0x8c0
	s_and_saveexec_b64 s[10:11], s[0:1]
	s_cbranch_execz .LBB4_10
; %bb.1:
	s_load_dword s12, s[4:5], 0x8c4
	s_load_dwordx2 s[16:17], s[4:5], 0x8d0
	s_mov_b64 s[14:15], src_private_base
	s_waitcnt lgkmcnt(0)
	s_ashr_i32 s13, s12, 31
	s_lshl_b64 s[12:13], s[12:13], 3
	s_add_u32 s12, s16, s12
	s_addc_u32 s13, s17, s13
	s_cmp_eq_u32 s13, s15
	s_cselect_b64 s[14:15], -1, 0
	s_andn2_b64 vcc, exec, s[14:15]
	s_mov_b64 s[14:15], -1
	s_cbranch_vccz .LBB4_3
; %bb.2:
	v_mov_b64_e32 v[2:3], 1
	v_mov_b64_e32 v[4:5], s[12:13]
	buffer_wbl2 sc0 sc1
	flat_atomic_add_x2 v[4:5], v[2:3] sc1
	s_waitcnt vmcnt(0) lgkmcnt(0)
	buffer_inv sc0 sc1
	s_mov_b64 s[14:15], 0
.LBB4_3:
	s_andn2_b64 vcc, exec, s[14:15]
	s_cbranch_vccnz .LBB4_5
; %bb.4:
	s_cmp_lg_u64 s[12:13], 0
	s_cselect_b32 s3, s12, -1
	scratch_load_dwordx2 v[2:3], off, s3
	s_waitcnt vmcnt(0)
	v_lshl_add_u64 v[2:3], v[2:3], 0, 1
	scratch_store_dwordx2 off, v[2:3], s3
.LBB4_5:
	v_mov_b32_e32 v1, 0
	global_load_dword v2, v1, s[4:5] offset:2248
	s_waitcnt vmcnt(0)
	v_cmp_gt_i32_e32 vcc, 1, v2
	s_cbranch_vccnz .LBB4_10
; %bb.6:
	s_mov_b32 s13, 0
	s_mov_b32 s12, s13
.LBB4_7:                                ; =>This Loop Header: Depth=1
                                        ;     Child Loop BB4_8 Depth 2
	s_mov_b64 s[14:15], 0
	s_lshl_b64 s[16:17], s[12:13], 3
.LBB4_8:                                ;   Parent Loop BB4_7 Depth=1
                                        ; =>  This Inner Loop Header: Depth=2
	global_load_dwordx2 v[2:3], v1, s[4:5] offset:2256
	s_waitcnt vmcnt(0)
	v_lshl_add_u64 v[2:3], v[2:3], 0, s[16:17]
	flat_load_dwordx2 v[2:3], v[2:3] sc0 sc1
	s_waitcnt vmcnt(0) lgkmcnt(0)
	buffer_inv sc0 sc1
	v_cmp_le_u64_e32 vcc, s[8:9], v[2:3]
	s_or_b64 s[14:15], vcc, s[14:15]
	s_andn2_b64 exec, exec, s[14:15]
	s_cbranch_execnz .LBB4_8
; %bb.9:                                ;   in Loop: Header=BB4_7 Depth=1
	s_or_b64 exec, exec, s[14:15]
	global_load_dword v2, v1, s[4:5] offset:2248
	s_add_i32 s12, s12, 1
	s_waitcnt vmcnt(0)
	v_cmp_lt_i32_e32 vcc, s12, v2
	s_cbranch_vccnz .LBB4_7
.LBB4_10:
	s_or_b64 exec, exec, s[10:11]
	s_waitcnt lgkmcnt(0)
	s_barrier
                                        ; implicit-def: $sgpr8_sgpr9
	s_and_saveexec_b64 s[10:11], s[0:1]
; %bb.11:
	s_memrealtime s[8:9]
; %bb.12:
	s_or_b64 exec, exec, s[10:11]
	s_ashr_i32 s3, s2, 31
	s_cmp_lt_i32 s20, 1
	s_cbranch_scc1 .LBB4_35
; %bb.13:
	s_lshl_b64 s[10:11], s[2:3], 3
	s_add_u32 s4, s4, s10
	s_addc_u32 s5, s5, s11
	v_mov_b32_e32 v1, 0
	global_load_dwordx2 v[2:3], v1, s[4:5] offset:448
	global_load_dwordx2 v[4:5], v1, s[4:5] offset:896
	v_lshrrev_b32_e32 v1, 6, v0
	v_and_b32_e32 v7, 63, v0
	s_mov_b32 s4, 0
	s_waitcnt vmcnt(0)
	v_or_b32_e32 v6, v4, v2
	v_and_b32_e32 v6, 3, v6
	v_cmp_eq_u32_e32 vcc, 0, v6
	v_lshl_or_b32 v6, v1, 9, v7
	s_cbranch_vccnz .LBB4_24
; %bb.14:
	v_lshl_or_b32 v1, v1, 9, v7
	s_mov_b64 s[10:11], -1
	s_cbranch_execnz .LBB4_25
.LBB4_15:
	s_lshr_b32 s4, s20, 2
	s_and_b32 s21, s4, 0x1ffffe00
	v_cmp_gt_u32_e32 vcc, s21, v6
	s_and_saveexec_b64 s[12:13], vcc
	s_cbranch_execz .LBB4_18
; %bb.16:
	v_lshlrev_b32_e32 v10, 4, v6
	v_mov_b32_e32 v11, 0
	v_lshl_add_u64 v[8:9], v[4:5], 0, v[10:11]
	v_lshl_add_u64 v[10:11], v[2:3], 0, v[10:11]
	s_mov_b64 s[14:15], 0
	s_mov_b64 s[16:17], 0x1000
	s_mov_b64 s[18:19], 0x8000
	v_mov_b32_e32 v1, v6
.LBB4_17:                               ; =>This Inner Loop Header: Depth=1
	flat_load_dwordx4 v[12:15], v[10:11] nt
	flat_load_dwordx4 v[16:19], v[10:11] offset:1024 nt
	flat_load_dwordx4 v[20:23], v[10:11] offset:2048 nt
	flat_load_dwordx4 v[24:27], v[10:11] offset:3072 nt
	v_lshl_add_u64 v[44:45], v[10:11], 0, s[16:17]
	v_add_co_u32_e32 v46, vcc, 0x1000, v10
	v_add_u32_e32 v1, 0x800, v1
	s_nop 0
	v_addc_co_u32_e32 v47, vcc, 0, v11, vcc
	flat_load_dwordx4 v[28:31], v[44:45] offset:1024 nt
	flat_load_dwordx4 v[32:35], v[44:45] offset:2048 nt
	flat_load_dwordx4 v[36:39], v[46:47] nt
	flat_load_dwordx4 v[40:43], v[44:45] offset:3072 nt
	v_add_co_u32_e32 v46, vcc, 0x1000, v8
	v_cmp_le_u32_e64 s[4:5], s21, v1
	v_lshl_add_u64 v[44:45], v[8:9], 0, s[16:17]
	v_lshl_add_u64 v[10:11], v[10:11], 0, s[18:19]
	v_addc_co_u32_e32 v47, vcc, 0, v9, vcc
	s_or_b64 s[14:15], s[4:5], s[14:15]
	s_waitcnt vmcnt(0) lgkmcnt(0)
	flat_store_dwordx4 v[8:9], v[12:15] nt
	flat_store_dwordx4 v[8:9], v[16:19] offset:1024 nt
	flat_store_dwordx4 v[8:9], v[20:23] offset:2048 nt
	;; [unrolled: 1-line block ×3, first 2 shown]
	v_lshl_add_u64 v[8:9], v[8:9], 0, s[18:19]
	flat_store_dwordx4 v[44:45], v[28:31] offset:1024 nt
	flat_store_dwordx4 v[44:45], v[32:35] offset:2048 nt
	flat_store_dwordx4 v[46:47], v[36:39] nt
	flat_store_dwordx4 v[44:45], v[40:43] offset:3072 nt
	s_andn2_b64 exec, exec, s[14:15]
	s_cbranch_execnz .LBB4_17
.LBB4_18:
	s_or_b64 exec, exec, s[12:13]
	s_lshl_b32 s4, s21, 2
	s_cmp_eq_u32 s20, s4
	s_cbranch_scc1 .LBB4_26
; %bb.19:
	s_sub_i32 s18, s20, s4
	s_ashr_i32 s19, s18, 2
	v_cmp_gt_i32_e32 vcc, s19, v0
	s_and_saveexec_b64 s[12:13], vcc
	s_cbranch_execz .LBB4_22
; %bb.20:
	s_mov_b32 s5, 0
	s_lshl_b64 s[14:15], s[4:5], 2
	v_lshl_add_u64 v[8:9], v[4:5], 0, s[14:15]
	v_lshlrev_b32_e32 v10, 4, v0
	v_mov_b32_e32 v11, 0
	v_lshl_add_u64 v[12:13], v[2:3], 0, s[14:15]
	v_lshl_add_u64 v[8:9], v[8:9], 0, v[10:11]
	;; [unrolled: 1-line block ×3, first 2 shown]
	s_mov_b64 s[14:15], 0
	s_mov_b64 s[16:17], 0x1000
	v_mov_b32_e32 v1, v0
.LBB4_21:                               ; =>This Inner Loop Header: Depth=1
	flat_load_dwordx4 v[12:15], v[10:11] nt
	v_add_u32_e32 v1, 0x100, v1
	v_cmp_le_i32_e32 vcc, s19, v1
	v_lshl_add_u64 v[10:11], v[10:11], 0, s[16:17]
	s_or_b64 s[14:15], vcc, s[14:15]
	s_waitcnt vmcnt(0) lgkmcnt(0)
	flat_store_dwordx4 v[8:9], v[12:15]
	v_lshl_add_u64 v[8:9], v[8:9], 0, s[16:17]
	s_andn2_b64 exec, exec, s[14:15]
	s_cbranch_execnz .LBB4_21
.LBB4_22:
	s_or_b64 exec, exec, s[12:13]
	s_and_b32 s16, s20, 3
	s_cmp_eq_u32 s16, 0
	s_cbranch_scc1 .LBB4_27
; %bb.23:
	s_and_b32 s5, s18, -4
	s_add_i32 s4, s5, s4
	s_cbranch_execnz .LBB4_28
	s_branch .LBB4_35
.LBB4_24:
	s_mov_b64 s[10:11], 0
                                        ; implicit-def: $vgpr1
	s_branch .LBB4_15
.LBB4_25:
	s_mov_b32 s16, s20
	v_mov_b32_e32 v6, v1
	s_and_b64 vcc, exec, s[10:11]
	s_cbranch_vccnz .LBB4_28
	s_branch .LBB4_35
.LBB4_26:
                                        ; implicit-def: $sgpr16
.LBB4_27:
                                        ; implicit-def: $sgpr4
	s_and_b64 vcc, exec, s[10:11]
	s_cbranch_vccz .LBB4_35
.LBB4_28:
	s_and_b32 s17, s16, 0x7ffffe00
	v_cmp_gt_u32_e32 vcc, s17, v6
	s_and_saveexec_b64 s[10:11], vcc
	s_cbranch_execz .LBB4_31
; %bb.29:
	s_ashr_i32 s5, s4, 31
	s_lshl_b64 s[12:13], s[4:5], 2
	v_mov_b32_e32 v7, 0
	v_lshl_add_u64 v[8:9], v[4:5], 0, s[12:13]
	v_lshlrev_b64 v[10:11], 2, v[6:7]
	v_lshl_add_u64 v[12:13], v[2:3], 0, s[12:13]
	v_lshl_add_u64 v[8:9], v[8:9], 0, v[10:11]
	;; [unrolled: 1-line block ×3, first 2 shown]
	s_mov_b64 s[12:13], 0
	s_mov_b64 s[14:15], 0x2000
.LBB4_30:                               ; =>This Inner Loop Header: Depth=1
	flat_load_dword v1, v[10:11] nt
	flat_load_dword v7, v[10:11] offset:256 nt
	flat_load_dword v12, v[10:11] offset:512 nt
	;; [unrolled: 1-line block ×7, first 2 shown]
	v_add_u32_e32 v6, 0x800, v6
	v_cmp_le_u32_e32 vcc, s17, v6
	v_lshl_add_u64 v[10:11], v[10:11], 0, s[14:15]
	s_or_b64 s[12:13], vcc, s[12:13]
	s_waitcnt vmcnt(0) lgkmcnt(0)
	flat_store_dword v[8:9], v1 nt
	flat_store_dword v[8:9], v7 offset:256 nt
	flat_store_dword v[8:9], v12 offset:512 nt
	;; [unrolled: 1-line block ×7, first 2 shown]
	v_lshl_add_u64 v[8:9], v[8:9], 0, s[14:15]
	s_andn2_b64 exec, exec, s[12:13]
	s_cbranch_execnz .LBB4_30
.LBB4_31:
	s_or_b64 exec, exec, s[10:11]
	s_and_b32 s14, s16, 0x1ff
	s_cmp_lg_u32 s14, 0
	s_cselect_b64 s[10:11], -1, 0
	v_cmp_gt_u32_e32 vcc, s14, v0
	s_and_b64 s[12:13], s[10:11], vcc
	s_and_saveexec_b64 s[10:11], s[12:13]
	s_cbranch_execz .LBB4_34
; %bb.32:
	s_add_i32 s4, s17, s4
	s_ashr_i32 s5, s4, 31
	s_lshl_b64 s[4:5], s[4:5], 2
	v_lshl_add_u64 v[4:5], v[4:5], 0, s[4:5]
	v_lshlrev_b32_e32 v6, 2, v0
	v_mov_b32_e32 v7, 0
	v_lshl_add_u64 v[2:3], v[2:3], 0, s[4:5]
	v_lshl_add_u64 v[4:5], v[4:5], 0, v[6:7]
	;; [unrolled: 1-line block ×3, first 2 shown]
	s_mov_b64 s[4:5], 0
	s_mov_b64 s[12:13], 0x400
.LBB4_33:                               ; =>This Inner Loop Header: Depth=1
	flat_load_dword v1, v[2:3] nt
	v_add_u32_e32 v0, 0x100, v0
	v_cmp_le_u32_e32 vcc, s14, v0
	v_lshl_add_u64 v[2:3], v[2:3], 0, s[12:13]
	s_or_b64 s[4:5], vcc, s[4:5]
	s_waitcnt vmcnt(0) lgkmcnt(0)
	flat_store_dword v[4:5], v1 nt
	v_lshl_add_u64 v[4:5], v[4:5], 0, s[12:13]
	s_andn2_b64 exec, exec, s[4:5]
	s_cbranch_execnz .LBB4_33
.LBB4_34:
	s_or_b64 exec, exec, s[10:11]
.LBB4_35:
	s_waitcnt lgkmcnt(0)
	s_barrier
	s_and_saveexec_b64 s[4:5], s[0:1]
	s_cbranch_execz .LBB4_40
; %bb.36:
	s_memrealtime s[10:11]
	s_mov_b64 s[4:5], exec
	s_lshl_b64 s[0:1], s[2:3], 3
	v_mbcnt_lo_u32_b32 v0, s4, 0
	s_add_u32 s0, s6, s0
	v_mbcnt_hi_u32_b32 v0, s5, v0
	s_addc_u32 s1, s7, s1
	v_cmp_eq_u32_e32 vcc, 0, v0
	s_and_saveexec_b64 s[2:3], vcc
	s_cbranch_execz .LBB4_38
; %bb.37:
	s_waitcnt lgkmcnt(0)
	s_sub_u32 s6, s10, s8
	s_subb_u32 s7, s11, s9
	s_bcnt1_i32_b64 s4, s[4:5]
	s_mul_i32 s7, s7, s4
	s_mul_hi_u32 s5, s6, s4
	s_add_i32 s5, s5, s7
	s_mul_i32 s6, s6, s4
	v_mov_b32_e32 v0, s6
	v_mov_b32_e32 v1, s5
	;; [unrolled: 1-line block ×3, first 2 shown]
	buffer_wbl2 sc0 sc1
	s_waitcnt vmcnt(0)
	global_atomic_add_x2 v2, v[0:1], s[0:1] sc1
	s_waitcnt vmcnt(0)
	buffer_inv sc0 sc1
.LBB4_38:
	s_or_b64 exec, exec, s[2:3]
	s_mov_b64 s[2:3], exec
	v_mbcnt_lo_u32_b32 v0, s2, 0
	v_mbcnt_hi_u32_b32 v0, s3, v0
	v_cmp_eq_u32_e32 vcc, 0, v0
	s_and_b64 s[4:5], exec, vcc
	s_mov_b64 exec, s[4:5]
	s_cbranch_execz .LBB4_40
; %bb.39:
	s_bcnt1_i32_b64 s2, s[2:3]
	s_mul_hi_i32 s3, s20, s2
	s_mul_i32 s2, s20, s2
	s_lshl_b64 s[2:3], s[2:3], 2
	v_mov_b32_e32 v0, 0
	v_mov_b64_e32 v[2:3], s[2:3]
	buffer_wbl2 sc0 sc1
	s_waitcnt vmcnt(0) lgkmcnt(0)
	global_atomic_add_x2 v0, v[2:3], s[0:1] offset:448 sc1
	s_waitcnt vmcnt(0)
	buffer_inv sc0 sc1
.LBB4_40:
	s_endpgm
	.section	.rodata,"a",@progbits
	.p2align	6, 0x0
	.amdhsa_kernel _Z16flag_sync_kernelILi1ELi1EEvP15transfer_data_tP16profiling_data_tm
		.amdhsa_group_segment_fixed_size 0
		.amdhsa_private_segment_fixed_size 0
		.amdhsa_kernarg_size 24
		.amdhsa_user_sgpr_count 2
		.amdhsa_user_sgpr_dispatch_ptr 0
		.amdhsa_user_sgpr_queue_ptr 0
		.amdhsa_user_sgpr_kernarg_segment_ptr 1
		.amdhsa_user_sgpr_dispatch_id 0
		.amdhsa_user_sgpr_kernarg_preload_length 0
		.amdhsa_user_sgpr_kernarg_preload_offset 0
		.amdhsa_user_sgpr_private_segment_size 0
		.amdhsa_uses_dynamic_stack 0
		.amdhsa_enable_private_segment 0
		.amdhsa_system_sgpr_workgroup_id_x 1
		.amdhsa_system_sgpr_workgroup_id_y 0
		.amdhsa_system_sgpr_workgroup_id_z 0
		.amdhsa_system_sgpr_workgroup_info 0
		.amdhsa_system_vgpr_workitem_id 0
		.amdhsa_next_free_vgpr 48
		.amdhsa_next_free_sgpr 22
		.amdhsa_accum_offset 48
		.amdhsa_reserve_vcc 1
		.amdhsa_float_round_mode_32 0
		.amdhsa_float_round_mode_16_64 0
		.amdhsa_float_denorm_mode_32 3
		.amdhsa_float_denorm_mode_16_64 3
		.amdhsa_dx10_clamp 1
		.amdhsa_ieee_mode 1
		.amdhsa_fp16_overflow 0
		.amdhsa_tg_split 0
		.amdhsa_exception_fp_ieee_invalid_op 0
		.amdhsa_exception_fp_denorm_src 0
		.amdhsa_exception_fp_ieee_div_zero 0
		.amdhsa_exception_fp_ieee_overflow 0
		.amdhsa_exception_fp_ieee_underflow 0
		.amdhsa_exception_fp_ieee_inexact 0
		.amdhsa_exception_int_div_zero 0
	.end_amdhsa_kernel
	.section	.text._Z16flag_sync_kernelILi1ELi1EEvP15transfer_data_tP16profiling_data_tm,"axG",@progbits,_Z16flag_sync_kernelILi1ELi1EEvP15transfer_data_tP16profiling_data_tm,comdat
.Lfunc_end4:
	.size	_Z16flag_sync_kernelILi1ELi1EEvP15transfer_data_tP16profiling_data_tm, .Lfunc_end4-_Z16flag_sync_kernelILi1ELi1EEvP15transfer_data_tP16profiling_data_tm
                                        ; -- End function
	.set _Z16flag_sync_kernelILi1ELi1EEvP15transfer_data_tP16profiling_data_tm.num_vgpr, 48
	.set _Z16flag_sync_kernelILi1ELi1EEvP15transfer_data_tP16profiling_data_tm.num_agpr, 0
	.set _Z16flag_sync_kernelILi1ELi1EEvP15transfer_data_tP16profiling_data_tm.numbered_sgpr, 22
	.set _Z16flag_sync_kernelILi1ELi1EEvP15transfer_data_tP16profiling_data_tm.num_named_barrier, 0
	.set _Z16flag_sync_kernelILi1ELi1EEvP15transfer_data_tP16profiling_data_tm.private_seg_size, 0
	.set _Z16flag_sync_kernelILi1ELi1EEvP15transfer_data_tP16profiling_data_tm.uses_vcc, 1
	.set _Z16flag_sync_kernelILi1ELi1EEvP15transfer_data_tP16profiling_data_tm.uses_flat_scratch, 0
	.set _Z16flag_sync_kernelILi1ELi1EEvP15transfer_data_tP16profiling_data_tm.has_dyn_sized_stack, 0
	.set _Z16flag_sync_kernelILi1ELi1EEvP15transfer_data_tP16profiling_data_tm.has_recursion, 0
	.set _Z16flag_sync_kernelILi1ELi1EEvP15transfer_data_tP16profiling_data_tm.has_indirect_call, 0
	.section	.AMDGPU.csdata,"",@progbits
; Kernel info:
; codeLenInByte = 1624
; TotalNumSgprs: 28
; NumVgprs: 48
; NumAgprs: 0
; TotalNumVgprs: 48
; ScratchSize: 0
; MemoryBound: 0
; FloatMode: 240
; IeeeMode: 1
; LDSByteSize: 0 bytes/workgroup (compile time only)
; SGPRBlocks: 3
; VGPRBlocks: 5
; NumSGPRsForWavesPerEU: 28
; NumVGPRsForWavesPerEU: 48
; AccumOffset: 48
; Occupancy: 8
; WaveLimiterHint : 1
; COMPUTE_PGM_RSRC2:SCRATCH_EN: 0
; COMPUTE_PGM_RSRC2:USER_SGPR: 2
; COMPUTE_PGM_RSRC2:TRAP_HANDLER: 0
; COMPUTE_PGM_RSRC2:TGID_X_EN: 1
; COMPUTE_PGM_RSRC2:TGID_Y_EN: 0
; COMPUTE_PGM_RSRC2:TGID_Z_EN: 0
; COMPUTE_PGM_RSRC2:TIDIG_COMP_CNT: 0
; COMPUTE_PGM_RSRC3_GFX90A:ACCUM_OFFSET: 11
; COMPUTE_PGM_RSRC3_GFX90A:TG_SPLIT: 0
	.section	.text._Z16flag_sync_kernelILi2ELi0EEvP15transfer_data_tP16profiling_data_tm,"axG",@progbits,_Z16flag_sync_kernelILi2ELi0EEvP15transfer_data_tP16profiling_data_tm,comdat
	.protected	_Z16flag_sync_kernelILi2ELi0EEvP15transfer_data_tP16profiling_data_tm ; -- Begin function _Z16flag_sync_kernelILi2ELi0EEvP15transfer_data_tP16profiling_data_tm
	.globl	_Z16flag_sync_kernelILi2ELi0EEvP15transfer_data_tP16profiling_data_tm
	.p2align	8
	.type	_Z16flag_sync_kernelILi2ELi0EEvP15transfer_data_tP16profiling_data_tm,@function
_Z16flag_sync_kernelILi2ELi0EEvP15transfer_data_tP16profiling_data_tm: ; @_Z16flag_sync_kernelILi2ELi0EEvP15transfer_data_tP16profiling_data_tm
; %bb.0:
	s_load_dwordx4 s[4:7], s[0:1], 0x0
	v_cmp_eq_u32_e64 s[0:1], 0, v0
	s_waitcnt lgkmcnt(0)
	s_load_dword s18, s[4:5], 0x8c0
	s_and_saveexec_b64 s[8:9], s[0:1]
	s_cbranch_execz .LBB5_5
; %bb.1:
	s_load_dword s10, s[4:5], 0x8c4
	s_load_dwordx2 s[14:15], s[4:5], 0x8d0
	s_mov_b64 s[12:13], src_private_base
	s_waitcnt lgkmcnt(0)
	s_ashr_i32 s11, s10, 31
	s_lshl_b64 s[10:11], s[10:11], 3
	s_add_u32 s10, s14, s10
	s_addc_u32 s11, s15, s11
	s_cmp_eq_u32 s11, s13
	s_cselect_b64 s[12:13], -1, 0
	s_andn2_b64 vcc, exec, s[12:13]
	s_mov_b64 s[12:13], -1
	s_cbranch_vccz .LBB5_3
; %bb.2:
	v_mov_b64_e32 v[2:3], 1
	v_mov_b64_e32 v[4:5], s[10:11]
	buffer_wbl2 sc0 sc1
	flat_atomic_add_x2 v[4:5], v[2:3] sc1
	s_waitcnt vmcnt(0) lgkmcnt(0)
	buffer_inv sc0 sc1
	s_mov_b64 s[12:13], 0
.LBB5_3:
	s_andn2_b64 vcc, exec, s[12:13]
	s_cbranch_vccnz .LBB5_5
; %bb.4:
	s_cmp_lg_u64 s[10:11], 0
	s_cselect_b32 s3, s10, -1
	scratch_load_dwordx2 v[2:3], off, s3
	s_waitcnt vmcnt(0)
	v_lshl_add_u64 v[2:3], v[2:3], 0, 1
	scratch_store_dwordx2 off, v[2:3], s3
.LBB5_5:
	s_or_b64 exec, exec, s[8:9]
	s_waitcnt lgkmcnt(0)
	s_barrier
                                        ; implicit-def: $sgpr8_sgpr9
	s_and_saveexec_b64 s[10:11], s[0:1]
; %bb.6:
	s_memrealtime s[8:9]
; %bb.7:
	s_or_b64 exec, exec, s[10:11]
	s_ashr_i32 s3, s2, 31
	s_cmp_lt_i32 s18, 1
	s_cbranch_scc1 .LBB5_29
; %bb.8:
	s_lshl_b64 s[10:11], s[2:3], 3
	s_add_u32 s4, s4, s10
	s_addc_u32 s5, s5, s11
	v_mov_b32_e32 v1, 0
	global_load_dwordx2 v[6:7], v1, s[4:5] offset:448
	global_load_dwordx2 v[2:3], v1, s[4:5] offset:896
	global_load_dwordx2 v[4:5], v1, s[4:5]
	v_lshrrev_b32_e32 v1, 6, v0
	v_and_b32_e32 v9, 63, v0
	s_mov_b32 s10, 0
	s_waitcnt vmcnt(0)
	v_or_b32_e32 v8, v4, v6
	v_or_b32_e32 v8, v8, v2
	v_and_b32_e32 v8, 3, v8
	v_cmp_eq_u32_e32 vcc, 0, v8
	v_lshl_or_b32 v8, v1, 8, v9
	s_cbranch_vccnz .LBB5_19
; %bb.9:
	v_lshl_or_b32 v1, v1, 8, v9
	s_mov_b64 s[4:5], -1
	s_cbranch_execnz .LBB5_20
.LBB5_10:
	s_lshr_b32 s10, s18, 2
	s_and_b32 s16, s10, 0x1fffff00
	v_cmp_gt_u32_e32 vcc, s16, v8
	s_and_saveexec_b64 s[10:11], vcc
	s_cbranch_execz .LBB5_13
; %bb.11:
	v_lshlrev_b32_e32 v14, 4, v8
	v_mov_b32_e32 v15, 0
	v_lshl_add_u64 v[10:11], v[6:7], 0, v[14:15]
	v_lshl_add_u64 v[12:13], v[2:3], 0, v[14:15]
	;; [unrolled: 1-line block ×3, first 2 shown]
	s_mov_b64 s[12:13], 0
	s_mov_b64 s[14:15], 0x4000
	v_mov_b32_e32 v1, v8
.LBB5_12:                               ; =>This Inner Loop Header: Depth=1
	flat_load_dwordx4 v[16:19], v[10:11] nt
	flat_load_dwordx4 v[20:23], v[10:11] offset:1024 nt
	flat_load_dwordx4 v[24:27], v[10:11] offset:2048 nt
	;; [unrolled: 1-line block ×3, first 2 shown]
	v_add_u32_e32 v1, 0x400, v1
	v_cmp_le_u32_e32 vcc, s16, v1
	v_lshl_add_u64 v[10:11], v[10:11], 0, s[14:15]
	s_or_b64 s[12:13], vcc, s[12:13]
	s_waitcnt vmcnt(0) lgkmcnt(0)
	flat_store_dwordx4 v[14:15], v[16:19] nt
	flat_store_dwordx4 v[14:15], v[20:23] offset:1024 nt
	flat_store_dwordx4 v[14:15], v[24:27] offset:2048 nt
	;; [unrolled: 1-line block ×3, first 2 shown]
	flat_store_dwordx4 v[12:13], v[16:19] nt
	flat_store_dwordx4 v[12:13], v[20:23] offset:1024 nt
	flat_store_dwordx4 v[12:13], v[24:27] offset:2048 nt
	flat_store_dwordx4 v[12:13], v[28:31] offset:3072 nt
	v_lshl_add_u64 v[14:15], v[14:15], 0, s[14:15]
	v_lshl_add_u64 v[12:13], v[12:13], 0, s[14:15]
	s_andn2_b64 exec, exec, s[12:13]
	s_cbranch_execnz .LBB5_12
.LBB5_13:
	s_or_b64 exec, exec, s[10:11]
	s_lshl_b32 s10, s16, 2
	s_cmp_eq_u32 s18, s10
	s_cbranch_scc1 .LBB5_21
; %bb.14:
	s_sub_i32 s19, s18, s10
	s_ashr_i32 s20, s19, 2
	v_cmp_gt_i32_e32 vcc, s20, v0
	s_and_saveexec_b64 s[12:13], vcc
	s_cbranch_execz .LBB5_17
; %bb.15:
	s_mov_b32 s11, 0
	s_lshl_b64 s[14:15], s[10:11], 2
	v_lshl_add_u64 v[10:11], v[6:7], 0, s[14:15]
	v_lshlrev_b32_e32 v14, 4, v0
	v_mov_b32_e32 v15, 0
	v_lshl_add_u64 v[12:13], v[4:5], 0, s[14:15]
	v_lshl_add_u64 v[16:17], v[2:3], 0, s[14:15]
	;; [unrolled: 1-line block ×5, first 2 shown]
	s_mov_b64 s[14:15], 0
	s_mov_b64 s[16:17], 0x1000
	v_mov_b32_e32 v1, v0
.LBB5_16:                               ; =>This Inner Loop Header: Depth=1
	flat_load_dwordx4 v[16:19], v[10:11] nt
	v_add_u32_e32 v1, 0x100, v1
	v_cmp_le_i32_e32 vcc, s20, v1
	v_lshl_add_u64 v[10:11], v[10:11], 0, s[16:17]
	s_or_b64 s[14:15], vcc, s[14:15]
	s_waitcnt vmcnt(0) lgkmcnt(0)
	flat_store_dwordx4 v[12:13], v[16:19]
	flat_store_dwordx4 v[14:15], v[16:19]
	v_lshl_add_u64 v[12:13], v[12:13], 0, s[16:17]
	v_lshl_add_u64 v[14:15], v[14:15], 0, s[16:17]
	s_andn2_b64 exec, exec, s[14:15]
	s_cbranch_execnz .LBB5_16
.LBB5_17:
	s_or_b64 exec, exec, s[12:13]
	s_and_b32 s16, s18, 3
	s_cmp_eq_u32 s16, 0
	s_cbranch_scc1 .LBB5_22
; %bb.18:
	s_and_b32 s4, s19, -4
	s_add_i32 s10, s4, s10
	s_cbranch_execnz .LBB5_23
	s_branch .LBB5_29
.LBB5_19:
	s_mov_b64 s[4:5], 0
                                        ; implicit-def: $vgpr1
	s_branch .LBB5_10
.LBB5_20:
	s_mov_b32 s16, s18
	v_mov_b32_e32 v8, v1
	s_and_b64 vcc, exec, s[4:5]
	s_cbranch_vccnz .LBB5_23
	s_branch .LBB5_29
.LBB5_21:
                                        ; implicit-def: $sgpr16
.LBB5_22:
                                        ; implicit-def: $sgpr10
	s_and_b64 vcc, exec, s[4:5]
	s_cbranch_vccz .LBB5_29
.LBB5_23:
	s_and_b32 s17, s16, 0x7fffff00
	v_cmp_gt_u32_e32 vcc, s17, v8
	s_and_saveexec_b64 s[4:5], vcc
	s_cbranch_execz .LBB5_26
; %bb.24:
	s_ashr_i32 s11, s10, 31
	s_lshl_b64 s[12:13], s[10:11], 2
	v_mov_b32_e32 v9, 0
	v_lshl_add_u64 v[10:11], v[6:7], 0, s[12:13]
	v_lshlrev_b64 v[14:15], 2, v[8:9]
	v_lshl_add_u64 v[12:13], v[4:5], 0, s[12:13]
	v_lshl_add_u64 v[16:17], v[2:3], 0, s[12:13]
	;; [unrolled: 1-line block ×5, first 2 shown]
	s_mov_b64 s[12:13], 0
	s_mov_b64 s[14:15], 0x1000
.LBB5_25:                               ; =>This Inner Loop Header: Depth=1
	flat_load_dword v1, v[10:11] nt
	flat_load_dword v9, v[10:11] offset:256 nt
	flat_load_dword v16, v[10:11] offset:512 nt
	flat_load_dword v17, v[10:11] offset:768 nt
	v_add_u32_e32 v8, 0x400, v8
	v_cmp_le_u32_e32 vcc, s17, v8
	v_lshl_add_u64 v[10:11], v[10:11], 0, s[14:15]
	s_or_b64 s[12:13], vcc, s[12:13]
	s_waitcnt vmcnt(0) lgkmcnt(0)
	flat_store_dword v[12:13], v1 nt
	flat_store_dword v[12:13], v9 offset:256 nt
	flat_store_dword v[12:13], v16 offset:512 nt
	;; [unrolled: 1-line block ×3, first 2 shown]
	flat_store_dword v[14:15], v1 nt
	flat_store_dword v[14:15], v9 offset:256 nt
	flat_store_dword v[14:15], v16 offset:512 nt
	;; [unrolled: 1-line block ×3, first 2 shown]
	v_lshl_add_u64 v[12:13], v[12:13], 0, s[14:15]
	v_lshl_add_u64 v[14:15], v[14:15], 0, s[14:15]
	s_andn2_b64 exec, exec, s[12:13]
	s_cbranch_execnz .LBB5_25
.LBB5_26:
	s_or_b64 exec, exec, s[4:5]
	s_and_b32 s11, s16, 0xff
	s_cmp_lg_u32 s11, 0
	s_cselect_b64 s[4:5], -1, 0
	v_cmp_gt_u32_e32 vcc, s11, v0
	s_and_b64 s[12:13], s[4:5], vcc
	s_and_saveexec_b64 s[4:5], s[12:13]
	s_cbranch_execz .LBB5_28
; %bb.27:
	s_add_i32 s10, s17, s10
	s_ashr_i32 s11, s10, 31
	s_lshl_b64 s[10:11], s[10:11], 2
	v_lshl_add_u64 v[6:7], v[6:7], 0, s[10:11]
	v_lshlrev_b32_e32 v0, 2, v0
	v_mov_b32_e32 v1, 0
	v_lshl_add_u64 v[6:7], v[6:7], 0, v[0:1]
	flat_load_dword v6, v[6:7] nt
	v_lshl_add_u64 v[4:5], v[4:5], 0, s[10:11]
	v_lshl_add_u64 v[2:3], v[2:3], 0, s[10:11]
	;; [unrolled: 1-line block ×4, first 2 shown]
	s_waitcnt vmcnt(0) lgkmcnt(0)
	flat_store_dword v[4:5], v6 nt
	flat_store_dword v[0:1], v6 nt
.LBB5_28:
	s_or_b64 exec, exec, s[4:5]
.LBB5_29:
	s_waitcnt lgkmcnt(0)
	s_barrier
	s_and_saveexec_b64 s[4:5], s[0:1]
	s_cbranch_execz .LBB5_34
; %bb.30:
	s_memrealtime s[10:11]
	s_mov_b64 s[4:5], exec
	s_lshl_b64 s[0:1], s[2:3], 3
	v_mbcnt_lo_u32_b32 v0, s4, 0
	s_add_u32 s0, s6, s0
	v_mbcnt_hi_u32_b32 v0, s5, v0
	s_addc_u32 s1, s7, s1
	v_cmp_eq_u32_e32 vcc, 0, v0
	s_and_saveexec_b64 s[2:3], vcc
	s_cbranch_execz .LBB5_32
; %bb.31:
	s_waitcnt lgkmcnt(0)
	s_sub_u32 s6, s10, s8
	s_subb_u32 s7, s11, s9
	s_bcnt1_i32_b64 s4, s[4:5]
	s_mul_i32 s7, s7, s4
	s_mul_hi_u32 s5, s6, s4
	s_add_i32 s5, s5, s7
	s_mul_i32 s6, s6, s4
	v_mov_b32_e32 v0, s6
	v_mov_b32_e32 v1, s5
	;; [unrolled: 1-line block ×3, first 2 shown]
	buffer_wbl2 sc0 sc1
	s_waitcnt vmcnt(0)
	global_atomic_add_x2 v2, v[0:1], s[0:1] sc1
	s_waitcnt vmcnt(0)
	buffer_inv sc0 sc1
.LBB5_32:
	s_or_b64 exec, exec, s[2:3]
	s_mov_b64 s[2:3], exec
	v_mbcnt_lo_u32_b32 v0, s2, 0
	v_mbcnt_hi_u32_b32 v0, s3, v0
	v_cmp_eq_u32_e32 vcc, 0, v0
	s_and_b64 s[4:5], exec, vcc
	s_mov_b64 exec, s[4:5]
	s_cbranch_execz .LBB5_34
; %bb.33:
	s_bcnt1_i32_b64 s2, s[2:3]
	s_mul_hi_i32 s3, s18, s2
	s_mul_i32 s2, s18, s2
	s_lshl_b64 s[2:3], s[2:3], 2
	v_mov_b32_e32 v0, 0
	v_mov_b64_e32 v[2:3], s[2:3]
	buffer_wbl2 sc0 sc1
	s_waitcnt vmcnt(0) lgkmcnt(0)
	global_atomic_add_x2 v0, v[2:3], s[0:1] offset:448 sc1
	s_waitcnt vmcnt(0)
	buffer_inv sc0 sc1
.LBB5_34:
	s_endpgm
	.section	.rodata,"a",@progbits
	.p2align	6, 0x0
	.amdhsa_kernel _Z16flag_sync_kernelILi2ELi0EEvP15transfer_data_tP16profiling_data_tm
		.amdhsa_group_segment_fixed_size 0
		.amdhsa_private_segment_fixed_size 0
		.amdhsa_kernarg_size 24
		.amdhsa_user_sgpr_count 2
		.amdhsa_user_sgpr_dispatch_ptr 0
		.amdhsa_user_sgpr_queue_ptr 0
		.amdhsa_user_sgpr_kernarg_segment_ptr 1
		.amdhsa_user_sgpr_dispatch_id 0
		.amdhsa_user_sgpr_kernarg_preload_length 0
		.amdhsa_user_sgpr_kernarg_preload_offset 0
		.amdhsa_user_sgpr_private_segment_size 0
		.amdhsa_uses_dynamic_stack 0
		.amdhsa_enable_private_segment 0
		.amdhsa_system_sgpr_workgroup_id_x 1
		.amdhsa_system_sgpr_workgroup_id_y 0
		.amdhsa_system_sgpr_workgroup_id_z 0
		.amdhsa_system_sgpr_workgroup_info 0
		.amdhsa_system_vgpr_workitem_id 0
		.amdhsa_next_free_vgpr 32
		.amdhsa_next_free_sgpr 21
		.amdhsa_accum_offset 32
		.amdhsa_reserve_vcc 1
		.amdhsa_float_round_mode_32 0
		.amdhsa_float_round_mode_16_64 0
		.amdhsa_float_denorm_mode_32 3
		.amdhsa_float_denorm_mode_16_64 3
		.amdhsa_dx10_clamp 1
		.amdhsa_ieee_mode 1
		.amdhsa_fp16_overflow 0
		.amdhsa_tg_split 0
		.amdhsa_exception_fp_ieee_invalid_op 0
		.amdhsa_exception_fp_denorm_src 0
		.amdhsa_exception_fp_ieee_div_zero 0
		.amdhsa_exception_fp_ieee_overflow 0
		.amdhsa_exception_fp_ieee_underflow 0
		.amdhsa_exception_fp_ieee_inexact 0
		.amdhsa_exception_int_div_zero 0
	.end_amdhsa_kernel
	.section	.text._Z16flag_sync_kernelILi2ELi0EEvP15transfer_data_tP16profiling_data_tm,"axG",@progbits,_Z16flag_sync_kernelILi2ELi0EEvP15transfer_data_tP16profiling_data_tm,comdat
.Lfunc_end5:
	.size	_Z16flag_sync_kernelILi2ELi0EEvP15transfer_data_tP16profiling_data_tm, .Lfunc_end5-_Z16flag_sync_kernelILi2ELi0EEvP15transfer_data_tP16profiling_data_tm
                                        ; -- End function
	.set _Z16flag_sync_kernelILi2ELi0EEvP15transfer_data_tP16profiling_data_tm.num_vgpr, 32
	.set _Z16flag_sync_kernelILi2ELi0EEvP15transfer_data_tP16profiling_data_tm.num_agpr, 0
	.set _Z16flag_sync_kernelILi2ELi0EEvP15transfer_data_tP16profiling_data_tm.numbered_sgpr, 21
	.set _Z16flag_sync_kernelILi2ELi0EEvP15transfer_data_tP16profiling_data_tm.num_named_barrier, 0
	.set _Z16flag_sync_kernelILi2ELi0EEvP15transfer_data_tP16profiling_data_tm.private_seg_size, 0
	.set _Z16flag_sync_kernelILi2ELi0EEvP15transfer_data_tP16profiling_data_tm.uses_vcc, 1
	.set _Z16flag_sync_kernelILi2ELi0EEvP15transfer_data_tP16profiling_data_tm.uses_flat_scratch, 0
	.set _Z16flag_sync_kernelILi2ELi0EEvP15transfer_data_tP16profiling_data_tm.has_dyn_sized_stack, 0
	.set _Z16flag_sync_kernelILi2ELi0EEvP15transfer_data_tP16profiling_data_tm.has_recursion, 0
	.set _Z16flag_sync_kernelILi2ELi0EEvP15transfer_data_tP16profiling_data_tm.has_indirect_call, 0
	.section	.AMDGPU.csdata,"",@progbits
; Kernel info:
; codeLenInByte = 1428
; TotalNumSgprs: 27
; NumVgprs: 32
; NumAgprs: 0
; TotalNumVgprs: 32
; ScratchSize: 0
; MemoryBound: 0
; FloatMode: 240
; IeeeMode: 1
; LDSByteSize: 0 bytes/workgroup (compile time only)
; SGPRBlocks: 3
; VGPRBlocks: 3
; NumSGPRsForWavesPerEU: 27
; NumVGPRsForWavesPerEU: 32
; AccumOffset: 32
; Occupancy: 8
; WaveLimiterHint : 1
; COMPUTE_PGM_RSRC2:SCRATCH_EN: 0
; COMPUTE_PGM_RSRC2:USER_SGPR: 2
; COMPUTE_PGM_RSRC2:TRAP_HANDLER: 0
; COMPUTE_PGM_RSRC2:TGID_X_EN: 1
; COMPUTE_PGM_RSRC2:TGID_Y_EN: 0
; COMPUTE_PGM_RSRC2:TGID_Z_EN: 0
; COMPUTE_PGM_RSRC2:TIDIG_COMP_CNT: 0
; COMPUTE_PGM_RSRC3_GFX90A:ACCUM_OFFSET: 7
; COMPUTE_PGM_RSRC3_GFX90A:TG_SPLIT: 0
	.section	.text._Z16flag_sync_kernelILi2ELi1EEvP15transfer_data_tP16profiling_data_tm,"axG",@progbits,_Z16flag_sync_kernelILi2ELi1EEvP15transfer_data_tP16profiling_data_tm,comdat
	.protected	_Z16flag_sync_kernelILi2ELi1EEvP15transfer_data_tP16profiling_data_tm ; -- Begin function _Z16flag_sync_kernelILi2ELi1EEvP15transfer_data_tP16profiling_data_tm
	.globl	_Z16flag_sync_kernelILi2ELi1EEvP15transfer_data_tP16profiling_data_tm
	.p2align	8
	.type	_Z16flag_sync_kernelILi2ELi1EEvP15transfer_data_tP16profiling_data_tm,@function
_Z16flag_sync_kernelILi2ELi1EEvP15transfer_data_tP16profiling_data_tm: ; @_Z16flag_sync_kernelILi2ELi1EEvP15transfer_data_tP16profiling_data_tm
; %bb.0:
	s_load_dwordx4 s[4:7], s[0:1], 0x0
	s_load_dwordx2 s[8:9], s[0:1], 0x10
	v_cmp_eq_u32_e64 s[0:1], 0, v0
	s_waitcnt lgkmcnt(0)
	s_load_dword s18, s[4:5], 0x8c0
	s_and_saveexec_b64 s[10:11], s[0:1]
	s_cbranch_execz .LBB6_10
; %bb.1:
	s_load_dword s12, s[4:5], 0x8c4
	s_load_dwordx2 s[16:17], s[4:5], 0x8d0
	s_mov_b64 s[14:15], src_private_base
	s_waitcnt lgkmcnt(0)
	s_ashr_i32 s13, s12, 31
	s_lshl_b64 s[12:13], s[12:13], 3
	s_add_u32 s12, s16, s12
	s_addc_u32 s13, s17, s13
	s_cmp_eq_u32 s13, s15
	s_cselect_b64 s[14:15], -1, 0
	s_andn2_b64 vcc, exec, s[14:15]
	s_mov_b64 s[14:15], -1
	s_cbranch_vccz .LBB6_3
; %bb.2:
	v_mov_b64_e32 v[2:3], 1
	v_mov_b64_e32 v[4:5], s[12:13]
	buffer_wbl2 sc0 sc1
	flat_atomic_add_x2 v[4:5], v[2:3] sc1
	s_waitcnt vmcnt(0) lgkmcnt(0)
	buffer_inv sc0 sc1
	s_mov_b64 s[14:15], 0
.LBB6_3:
	s_andn2_b64 vcc, exec, s[14:15]
	s_cbranch_vccnz .LBB6_5
; %bb.4:
	s_cmp_lg_u64 s[12:13], 0
	s_cselect_b32 s3, s12, -1
	scratch_load_dwordx2 v[2:3], off, s3
	s_waitcnt vmcnt(0)
	v_lshl_add_u64 v[2:3], v[2:3], 0, 1
	scratch_store_dwordx2 off, v[2:3], s3
.LBB6_5:
	v_mov_b32_e32 v1, 0
	global_load_dword v2, v1, s[4:5] offset:2248
	s_waitcnt vmcnt(0)
	v_cmp_gt_i32_e32 vcc, 1, v2
	s_cbranch_vccnz .LBB6_10
; %bb.6:
	s_mov_b32 s13, 0
	s_mov_b32 s12, s13
.LBB6_7:                                ; =>This Loop Header: Depth=1
                                        ;     Child Loop BB6_8 Depth 2
	s_mov_b64 s[14:15], 0
	s_lshl_b64 s[16:17], s[12:13], 3
.LBB6_8:                                ;   Parent Loop BB6_7 Depth=1
                                        ; =>  This Inner Loop Header: Depth=2
	global_load_dwordx2 v[2:3], v1, s[4:5] offset:2256
	s_waitcnt vmcnt(0)
	v_lshl_add_u64 v[2:3], v[2:3], 0, s[16:17]
	flat_load_dwordx2 v[2:3], v[2:3] sc0 sc1
	s_waitcnt vmcnt(0) lgkmcnt(0)
	buffer_inv sc0 sc1
	v_cmp_le_u64_e32 vcc, s[8:9], v[2:3]
	s_or_b64 s[14:15], vcc, s[14:15]
	s_andn2_b64 exec, exec, s[14:15]
	s_cbranch_execnz .LBB6_8
; %bb.9:                                ;   in Loop: Header=BB6_7 Depth=1
	s_or_b64 exec, exec, s[14:15]
	global_load_dword v2, v1, s[4:5] offset:2248
	s_add_i32 s12, s12, 1
	s_waitcnt vmcnt(0)
	v_cmp_lt_i32_e32 vcc, s12, v2
	s_cbranch_vccnz .LBB6_7
.LBB6_10:
	s_or_b64 exec, exec, s[10:11]
	s_waitcnt lgkmcnt(0)
	s_barrier
                                        ; implicit-def: $sgpr8_sgpr9
	s_and_saveexec_b64 s[10:11], s[0:1]
; %bb.11:
	s_memrealtime s[8:9]
; %bb.12:
	s_or_b64 exec, exec, s[10:11]
	s_ashr_i32 s3, s2, 31
	s_cmp_lt_i32 s18, 1
	s_cbranch_scc1 .LBB6_34
; %bb.13:
	s_lshl_b64 s[10:11], s[2:3], 3
	s_add_u32 s4, s4, s10
	s_addc_u32 s5, s5, s11
	v_mov_b32_e32 v1, 0
	global_load_dwordx2 v[6:7], v1, s[4:5] offset:448
	global_load_dwordx2 v[2:3], v1, s[4:5] offset:896
	global_load_dwordx2 v[4:5], v1, s[4:5]
	v_lshrrev_b32_e32 v1, 6, v0
	v_and_b32_e32 v9, 63, v0
	s_mov_b32 s10, 0
	s_waitcnt vmcnt(0)
	v_or_b32_e32 v8, v4, v6
	v_or_b32_e32 v8, v8, v2
	v_and_b32_e32 v8, 3, v8
	v_cmp_eq_u32_e32 vcc, 0, v8
	v_lshl_or_b32 v8, v1, 8, v9
	s_cbranch_vccnz .LBB6_24
; %bb.14:
	v_lshl_or_b32 v1, v1, 8, v9
	s_mov_b64 s[4:5], -1
	s_cbranch_execnz .LBB6_25
.LBB6_15:
	s_lshr_b32 s10, s18, 2
	s_and_b32 s16, s10, 0x1fffff00
	v_cmp_gt_u32_e32 vcc, s16, v8
	s_and_saveexec_b64 s[10:11], vcc
	s_cbranch_execz .LBB6_18
; %bb.16:
	v_lshlrev_b32_e32 v14, 4, v8
	v_mov_b32_e32 v15, 0
	v_lshl_add_u64 v[10:11], v[6:7], 0, v[14:15]
	v_lshl_add_u64 v[12:13], v[2:3], 0, v[14:15]
	;; [unrolled: 1-line block ×3, first 2 shown]
	s_mov_b64 s[12:13], 0
	s_mov_b64 s[14:15], 0x4000
	v_mov_b32_e32 v1, v8
.LBB6_17:                               ; =>This Inner Loop Header: Depth=1
	flat_load_dwordx4 v[16:19], v[10:11] nt
	flat_load_dwordx4 v[20:23], v[10:11] offset:1024 nt
	flat_load_dwordx4 v[24:27], v[10:11] offset:2048 nt
	;; [unrolled: 1-line block ×3, first 2 shown]
	v_add_u32_e32 v1, 0x400, v1
	v_cmp_le_u32_e32 vcc, s16, v1
	v_lshl_add_u64 v[10:11], v[10:11], 0, s[14:15]
	s_or_b64 s[12:13], vcc, s[12:13]
	s_waitcnt vmcnt(0) lgkmcnt(0)
	flat_store_dwordx4 v[14:15], v[16:19] nt
	flat_store_dwordx4 v[14:15], v[20:23] offset:1024 nt
	flat_store_dwordx4 v[14:15], v[24:27] offset:2048 nt
	;; [unrolled: 1-line block ×3, first 2 shown]
	flat_store_dwordx4 v[12:13], v[16:19] nt
	flat_store_dwordx4 v[12:13], v[20:23] offset:1024 nt
	flat_store_dwordx4 v[12:13], v[24:27] offset:2048 nt
	;; [unrolled: 1-line block ×3, first 2 shown]
	v_lshl_add_u64 v[14:15], v[14:15], 0, s[14:15]
	v_lshl_add_u64 v[12:13], v[12:13], 0, s[14:15]
	s_andn2_b64 exec, exec, s[12:13]
	s_cbranch_execnz .LBB6_17
.LBB6_18:
	s_or_b64 exec, exec, s[10:11]
	s_lshl_b32 s10, s16, 2
	s_cmp_eq_u32 s18, s10
	s_cbranch_scc1 .LBB6_26
; %bb.19:
	s_sub_i32 s19, s18, s10
	s_ashr_i32 s20, s19, 2
	v_cmp_gt_i32_e32 vcc, s20, v0
	s_and_saveexec_b64 s[12:13], vcc
	s_cbranch_execz .LBB6_22
; %bb.20:
	s_mov_b32 s11, 0
	s_lshl_b64 s[14:15], s[10:11], 2
	v_lshl_add_u64 v[10:11], v[6:7], 0, s[14:15]
	v_lshlrev_b32_e32 v14, 4, v0
	v_mov_b32_e32 v15, 0
	v_lshl_add_u64 v[12:13], v[4:5], 0, s[14:15]
	v_lshl_add_u64 v[16:17], v[2:3], 0, s[14:15]
	;; [unrolled: 1-line block ×5, first 2 shown]
	s_mov_b64 s[14:15], 0
	s_mov_b64 s[16:17], 0x1000
	v_mov_b32_e32 v1, v0
.LBB6_21:                               ; =>This Inner Loop Header: Depth=1
	flat_load_dwordx4 v[16:19], v[10:11] nt
	v_add_u32_e32 v1, 0x100, v1
	v_cmp_le_i32_e32 vcc, s20, v1
	v_lshl_add_u64 v[10:11], v[10:11], 0, s[16:17]
	s_or_b64 s[14:15], vcc, s[14:15]
	s_waitcnt vmcnt(0) lgkmcnt(0)
	flat_store_dwordx4 v[12:13], v[16:19]
	flat_store_dwordx4 v[14:15], v[16:19]
	v_lshl_add_u64 v[12:13], v[12:13], 0, s[16:17]
	v_lshl_add_u64 v[14:15], v[14:15], 0, s[16:17]
	s_andn2_b64 exec, exec, s[14:15]
	s_cbranch_execnz .LBB6_21
.LBB6_22:
	s_or_b64 exec, exec, s[12:13]
	s_and_b32 s16, s18, 3
	s_cmp_eq_u32 s16, 0
	s_cbranch_scc1 .LBB6_27
; %bb.23:
	s_and_b32 s4, s19, -4
	s_add_i32 s10, s4, s10
	s_cbranch_execnz .LBB6_28
	s_branch .LBB6_34
.LBB6_24:
	s_mov_b64 s[4:5], 0
                                        ; implicit-def: $vgpr1
	s_branch .LBB6_15
.LBB6_25:
	s_mov_b32 s16, s18
	v_mov_b32_e32 v8, v1
	s_and_b64 vcc, exec, s[4:5]
	s_cbranch_vccnz .LBB6_28
	s_branch .LBB6_34
.LBB6_26:
                                        ; implicit-def: $sgpr16
.LBB6_27:
                                        ; implicit-def: $sgpr10
	s_and_b64 vcc, exec, s[4:5]
	s_cbranch_vccz .LBB6_34
.LBB6_28:
	s_and_b32 s17, s16, 0x7fffff00
	v_cmp_gt_u32_e32 vcc, s17, v8
	s_and_saveexec_b64 s[4:5], vcc
	s_cbranch_execz .LBB6_31
; %bb.29:
	s_ashr_i32 s11, s10, 31
	s_lshl_b64 s[12:13], s[10:11], 2
	v_mov_b32_e32 v9, 0
	v_lshl_add_u64 v[10:11], v[6:7], 0, s[12:13]
	v_lshlrev_b64 v[14:15], 2, v[8:9]
	v_lshl_add_u64 v[12:13], v[4:5], 0, s[12:13]
	v_lshl_add_u64 v[16:17], v[2:3], 0, s[12:13]
	;; [unrolled: 1-line block ×5, first 2 shown]
	s_mov_b64 s[12:13], 0
	s_mov_b64 s[14:15], 0x1000
.LBB6_30:                               ; =>This Inner Loop Header: Depth=1
	flat_load_dword v1, v[10:11] nt
	flat_load_dword v9, v[10:11] offset:256 nt
	flat_load_dword v16, v[10:11] offset:512 nt
	;; [unrolled: 1-line block ×3, first 2 shown]
	v_add_u32_e32 v8, 0x400, v8
	v_cmp_le_u32_e32 vcc, s17, v8
	v_lshl_add_u64 v[10:11], v[10:11], 0, s[14:15]
	s_or_b64 s[12:13], vcc, s[12:13]
	s_waitcnt vmcnt(0) lgkmcnt(0)
	flat_store_dword v[12:13], v1 nt
	flat_store_dword v[12:13], v9 offset:256 nt
	flat_store_dword v[12:13], v16 offset:512 nt
	;; [unrolled: 1-line block ×3, first 2 shown]
	flat_store_dword v[14:15], v1 nt
	flat_store_dword v[14:15], v9 offset:256 nt
	flat_store_dword v[14:15], v16 offset:512 nt
	;; [unrolled: 1-line block ×3, first 2 shown]
	v_lshl_add_u64 v[12:13], v[12:13], 0, s[14:15]
	v_lshl_add_u64 v[14:15], v[14:15], 0, s[14:15]
	s_andn2_b64 exec, exec, s[12:13]
	s_cbranch_execnz .LBB6_30
.LBB6_31:
	s_or_b64 exec, exec, s[4:5]
	s_and_b32 s11, s16, 0xff
	s_cmp_lg_u32 s11, 0
	s_cselect_b64 s[4:5], -1, 0
	v_cmp_gt_u32_e32 vcc, s11, v0
	s_and_b64 s[12:13], s[4:5], vcc
	s_and_saveexec_b64 s[4:5], s[12:13]
	s_cbranch_execz .LBB6_33
; %bb.32:
	s_add_i32 s10, s17, s10
	s_ashr_i32 s11, s10, 31
	s_lshl_b64 s[10:11], s[10:11], 2
	v_lshl_add_u64 v[6:7], v[6:7], 0, s[10:11]
	v_lshlrev_b32_e32 v0, 2, v0
	v_mov_b32_e32 v1, 0
	v_lshl_add_u64 v[6:7], v[6:7], 0, v[0:1]
	flat_load_dword v6, v[6:7] nt
	v_lshl_add_u64 v[4:5], v[4:5], 0, s[10:11]
	v_lshl_add_u64 v[2:3], v[2:3], 0, s[10:11]
	;; [unrolled: 1-line block ×4, first 2 shown]
	s_waitcnt vmcnt(0) lgkmcnt(0)
	flat_store_dword v[4:5], v6 nt
	flat_store_dword v[0:1], v6 nt
.LBB6_33:
	s_or_b64 exec, exec, s[4:5]
.LBB6_34:
	s_waitcnt lgkmcnt(0)
	s_barrier
	s_and_saveexec_b64 s[4:5], s[0:1]
	s_cbranch_execz .LBB6_39
; %bb.35:
	s_memrealtime s[10:11]
	s_mov_b64 s[4:5], exec
	s_lshl_b64 s[0:1], s[2:3], 3
	v_mbcnt_lo_u32_b32 v0, s4, 0
	s_add_u32 s0, s6, s0
	v_mbcnt_hi_u32_b32 v0, s5, v0
	s_addc_u32 s1, s7, s1
	v_cmp_eq_u32_e32 vcc, 0, v0
	s_and_saveexec_b64 s[2:3], vcc
	s_cbranch_execz .LBB6_37
; %bb.36:
	s_waitcnt lgkmcnt(0)
	s_sub_u32 s6, s10, s8
	s_subb_u32 s7, s11, s9
	s_bcnt1_i32_b64 s4, s[4:5]
	s_mul_i32 s7, s7, s4
	s_mul_hi_u32 s5, s6, s4
	s_add_i32 s5, s5, s7
	s_mul_i32 s6, s6, s4
	v_mov_b32_e32 v0, s6
	v_mov_b32_e32 v1, s5
	;; [unrolled: 1-line block ×3, first 2 shown]
	buffer_wbl2 sc0 sc1
	s_waitcnt vmcnt(0)
	global_atomic_add_x2 v2, v[0:1], s[0:1] sc1
	s_waitcnt vmcnt(0)
	buffer_inv sc0 sc1
.LBB6_37:
	s_or_b64 exec, exec, s[2:3]
	s_mov_b64 s[2:3], exec
	v_mbcnt_lo_u32_b32 v0, s2, 0
	v_mbcnt_hi_u32_b32 v0, s3, v0
	v_cmp_eq_u32_e32 vcc, 0, v0
	s_and_b64 s[4:5], exec, vcc
	s_mov_b64 exec, s[4:5]
	s_cbranch_execz .LBB6_39
; %bb.38:
	s_bcnt1_i32_b64 s2, s[2:3]
	s_mul_hi_i32 s3, s18, s2
	s_mul_i32 s2, s18, s2
	s_lshl_b64 s[2:3], s[2:3], 2
	v_mov_b32_e32 v0, 0
	v_mov_b64_e32 v[2:3], s[2:3]
	buffer_wbl2 sc0 sc1
	s_waitcnt vmcnt(0) lgkmcnt(0)
	global_atomic_add_x2 v0, v[2:3], s[0:1] offset:448 sc1
	s_waitcnt vmcnt(0)
	buffer_inv sc0 sc1
.LBB6_39:
	s_endpgm
	.section	.rodata,"a",@progbits
	.p2align	6, 0x0
	.amdhsa_kernel _Z16flag_sync_kernelILi2ELi1EEvP15transfer_data_tP16profiling_data_tm
		.amdhsa_group_segment_fixed_size 0
		.amdhsa_private_segment_fixed_size 0
		.amdhsa_kernarg_size 24
		.amdhsa_user_sgpr_count 2
		.amdhsa_user_sgpr_dispatch_ptr 0
		.amdhsa_user_sgpr_queue_ptr 0
		.amdhsa_user_sgpr_kernarg_segment_ptr 1
		.amdhsa_user_sgpr_dispatch_id 0
		.amdhsa_user_sgpr_kernarg_preload_length 0
		.amdhsa_user_sgpr_kernarg_preload_offset 0
		.amdhsa_user_sgpr_private_segment_size 0
		.amdhsa_uses_dynamic_stack 0
		.amdhsa_enable_private_segment 0
		.amdhsa_system_sgpr_workgroup_id_x 1
		.amdhsa_system_sgpr_workgroup_id_y 0
		.amdhsa_system_sgpr_workgroup_id_z 0
		.amdhsa_system_sgpr_workgroup_info 0
		.amdhsa_system_vgpr_workitem_id 0
		.amdhsa_next_free_vgpr 32
		.amdhsa_next_free_sgpr 21
		.amdhsa_accum_offset 32
		.amdhsa_reserve_vcc 1
		.amdhsa_float_round_mode_32 0
		.amdhsa_float_round_mode_16_64 0
		.amdhsa_float_denorm_mode_32 3
		.amdhsa_float_denorm_mode_16_64 3
		.amdhsa_dx10_clamp 1
		.amdhsa_ieee_mode 1
		.amdhsa_fp16_overflow 0
		.amdhsa_tg_split 0
		.amdhsa_exception_fp_ieee_invalid_op 0
		.amdhsa_exception_fp_denorm_src 0
		.amdhsa_exception_fp_ieee_div_zero 0
		.amdhsa_exception_fp_ieee_overflow 0
		.amdhsa_exception_fp_ieee_underflow 0
		.amdhsa_exception_fp_ieee_inexact 0
		.amdhsa_exception_int_div_zero 0
	.end_amdhsa_kernel
	.section	.text._Z16flag_sync_kernelILi2ELi1EEvP15transfer_data_tP16profiling_data_tm,"axG",@progbits,_Z16flag_sync_kernelILi2ELi1EEvP15transfer_data_tP16profiling_data_tm,comdat
.Lfunc_end6:
	.size	_Z16flag_sync_kernelILi2ELi1EEvP15transfer_data_tP16profiling_data_tm, .Lfunc_end6-_Z16flag_sync_kernelILi2ELi1EEvP15transfer_data_tP16profiling_data_tm
                                        ; -- End function
	.set _Z16flag_sync_kernelILi2ELi1EEvP15transfer_data_tP16profiling_data_tm.num_vgpr, 32
	.set _Z16flag_sync_kernelILi2ELi1EEvP15transfer_data_tP16profiling_data_tm.num_agpr, 0
	.set _Z16flag_sync_kernelILi2ELi1EEvP15transfer_data_tP16profiling_data_tm.numbered_sgpr, 21
	.set _Z16flag_sync_kernelILi2ELi1EEvP15transfer_data_tP16profiling_data_tm.num_named_barrier, 0
	.set _Z16flag_sync_kernelILi2ELi1EEvP15transfer_data_tP16profiling_data_tm.private_seg_size, 0
	.set _Z16flag_sync_kernelILi2ELi1EEvP15transfer_data_tP16profiling_data_tm.uses_vcc, 1
	.set _Z16flag_sync_kernelILi2ELi1EEvP15transfer_data_tP16profiling_data_tm.uses_flat_scratch, 0
	.set _Z16flag_sync_kernelILi2ELi1EEvP15transfer_data_tP16profiling_data_tm.has_dyn_sized_stack, 0
	.set _Z16flag_sync_kernelILi2ELi1EEvP15transfer_data_tP16profiling_data_tm.has_recursion, 0
	.set _Z16flag_sync_kernelILi2ELi1EEvP15transfer_data_tP16profiling_data_tm.has_indirect_call, 0
	.section	.AMDGPU.csdata,"",@progbits
; Kernel info:
; codeLenInByte = 1560
; TotalNumSgprs: 27
; NumVgprs: 32
; NumAgprs: 0
; TotalNumVgprs: 32
; ScratchSize: 0
; MemoryBound: 0
; FloatMode: 240
; IeeeMode: 1
; LDSByteSize: 0 bytes/workgroup (compile time only)
; SGPRBlocks: 3
; VGPRBlocks: 3
; NumSGPRsForWavesPerEU: 27
; NumVGPRsForWavesPerEU: 32
; AccumOffset: 32
; Occupancy: 8
; WaveLimiterHint : 1
; COMPUTE_PGM_RSRC2:SCRATCH_EN: 0
; COMPUTE_PGM_RSRC2:USER_SGPR: 2
; COMPUTE_PGM_RSRC2:TRAP_HANDLER: 0
; COMPUTE_PGM_RSRC2:TGID_X_EN: 1
; COMPUTE_PGM_RSRC2:TGID_Y_EN: 0
; COMPUTE_PGM_RSRC2:TGID_Z_EN: 0
; COMPUTE_PGM_RSRC2:TIDIG_COMP_CNT: 0
; COMPUTE_PGM_RSRC3_GFX90A:ACCUM_OFFSET: 7
; COMPUTE_PGM_RSRC3_GFX90A:TG_SPLIT: 0
	.section	.text._Z16flag_sync_kernelILi3ELi0EEvP15transfer_data_tP16profiling_data_tm,"axG",@progbits,_Z16flag_sync_kernelILi3ELi0EEvP15transfer_data_tP16profiling_data_tm,comdat
	.protected	_Z16flag_sync_kernelILi3ELi0EEvP15transfer_data_tP16profiling_data_tm ; -- Begin function _Z16flag_sync_kernelILi3ELi0EEvP15transfer_data_tP16profiling_data_tm
	.globl	_Z16flag_sync_kernelILi3ELi0EEvP15transfer_data_tP16profiling_data_tm
	.p2align	8
	.type	_Z16flag_sync_kernelILi3ELi0EEvP15transfer_data_tP16profiling_data_tm,@function
_Z16flag_sync_kernelILi3ELi0EEvP15transfer_data_tP16profiling_data_tm: ; @_Z16flag_sync_kernelILi3ELi0EEvP15transfer_data_tP16profiling_data_tm
; %bb.0:
	s_load_dwordx4 s[4:7], s[0:1], 0x0
	v_cmp_eq_u32_e64 s[0:1], 0, v0
	s_waitcnt lgkmcnt(0)
	s_load_dword s18, s[4:5], 0x8c0
	s_and_saveexec_b64 s[8:9], s[0:1]
	s_cbranch_execz .LBB7_5
; %bb.1:
	s_load_dword s10, s[4:5], 0x8c4
	s_load_dwordx2 s[14:15], s[4:5], 0x8d0
	s_mov_b64 s[12:13], src_private_base
	s_waitcnt lgkmcnt(0)
	s_ashr_i32 s11, s10, 31
	s_lshl_b64 s[10:11], s[10:11], 3
	s_add_u32 s10, s14, s10
	s_addc_u32 s11, s15, s11
	s_cmp_eq_u32 s11, s13
	s_cselect_b64 s[12:13], -1, 0
	s_andn2_b64 vcc, exec, s[12:13]
	s_mov_b64 s[12:13], -1
	s_cbranch_vccz .LBB7_3
; %bb.2:
	v_mov_b64_e32 v[2:3], 1
	v_mov_b64_e32 v[4:5], s[10:11]
	buffer_wbl2 sc0 sc1
	flat_atomic_add_x2 v[4:5], v[2:3] sc1
	s_waitcnt vmcnt(0) lgkmcnt(0)
	buffer_inv sc0 sc1
	s_mov_b64 s[12:13], 0
.LBB7_3:
	s_andn2_b64 vcc, exec, s[12:13]
	s_cbranch_vccnz .LBB7_5
; %bb.4:
	s_cmp_lg_u64 s[10:11], 0
	s_cselect_b32 s3, s10, -1
	scratch_load_dwordx2 v[2:3], off, s3
	s_waitcnt vmcnt(0)
	v_lshl_add_u64 v[2:3], v[2:3], 0, 1
	scratch_store_dwordx2 off, v[2:3], s3
.LBB7_5:
	s_or_b64 exec, exec, s[8:9]
	s_waitcnt lgkmcnt(0)
	s_barrier
                                        ; implicit-def: $sgpr8_sgpr9
	s_and_saveexec_b64 s[10:11], s[0:1]
; %bb.6:
	s_memrealtime s[8:9]
; %bb.7:
	s_or_b64 exec, exec, s[10:11]
	s_ashr_i32 s3, s2, 31
	s_cmp_lt_i32 s18, 1
	s_cbranch_scc1 .LBB7_29
; %bb.8:
	s_lshl_b64 s[10:11], s[2:3], 3
	s_add_u32 s4, s4, s10
	s_addc_u32 s5, s5, s11
	v_mov_b32_e32 v1, 0
	global_load_dwordx2 v[6:7], v1, s[4:5] offset:448
	global_load_dwordx2 v[2:3], v1, s[4:5] offset:896
	;; [unrolled: 1-line block ×3, first 2 shown]
	v_lshrrev_b32_e32 v1, 6, v0
	v_and_b32_e32 v9, 63, v0
	s_mov_b32 s10, 0
	s_waitcnt vmcnt(1)
	v_or_b32_e32 v8, v2, v6
	s_waitcnt vmcnt(0)
	v_or_b32_e32 v8, v8, v4
	v_and_b32_e32 v8, 3, v8
	v_cmp_eq_u32_e32 vcc, 0, v8
	v_lshl_or_b32 v8, v1, 8, v9
	s_cbranch_vccnz .LBB7_19
; %bb.9:
	v_lshl_or_b32 v1, v1, 8, v9
	s_mov_b64 s[4:5], -1
	s_cbranch_execnz .LBB7_20
.LBB7_10:
	s_lshr_b32 s10, s18, 2
	s_and_b32 s16, s10, 0x1fffff00
	v_cmp_gt_u32_e32 vcc, s16, v8
	s_and_saveexec_b64 s[10:11], vcc
	s_cbranch_execz .LBB7_13
; %bb.11:
	v_lshlrev_b32_e32 v14, 4, v8
	v_mov_b32_e32 v15, 0
	v_lshl_add_u64 v[10:11], v[6:7], 0, v[14:15]
	v_lshl_add_u64 v[12:13], v[4:5], 0, v[14:15]
	;; [unrolled: 1-line block ×3, first 2 shown]
	s_mov_b64 s[12:13], 0
	s_mov_b64 s[14:15], 0x4000
	v_mov_b32_e32 v1, v8
.LBB7_12:                               ; =>This Inner Loop Header: Depth=1
	flat_load_dwordx4 v[16:19], v[10:11] nt
	flat_load_dwordx4 v[20:23], v[10:11] offset:1024 nt
	flat_load_dwordx4 v[24:27], v[10:11] offset:2048 nt
	;; [unrolled: 1-line block ×3, first 2 shown]
	v_add_u32_e32 v1, 0x400, v1
	v_cmp_le_u32_e32 vcc, s16, v1
	v_lshl_add_u64 v[10:11], v[10:11], 0, s[14:15]
	s_or_b64 s[12:13], vcc, s[12:13]
	s_waitcnt vmcnt(0) lgkmcnt(0)
	flat_store_dwordx4 v[14:15], v[16:19] nt
	flat_store_dwordx4 v[14:15], v[20:23] offset:1024 nt
	flat_store_dwordx4 v[14:15], v[24:27] offset:2048 nt
	;; [unrolled: 1-line block ×3, first 2 shown]
	flat_store_dwordx4 v[12:13], v[16:19] nt
	flat_store_dwordx4 v[12:13], v[20:23] offset:1024 nt
	flat_store_dwordx4 v[12:13], v[24:27] offset:2048 nt
	;; [unrolled: 1-line block ×3, first 2 shown]
	v_lshl_add_u64 v[14:15], v[14:15], 0, s[14:15]
	v_lshl_add_u64 v[12:13], v[12:13], 0, s[14:15]
	s_andn2_b64 exec, exec, s[12:13]
	s_cbranch_execnz .LBB7_12
.LBB7_13:
	s_or_b64 exec, exec, s[10:11]
	s_lshl_b32 s10, s16, 2
	s_cmp_eq_u32 s18, s10
	s_cbranch_scc1 .LBB7_21
; %bb.14:
	s_sub_i32 s19, s18, s10
	s_ashr_i32 s20, s19, 2
	v_cmp_gt_i32_e32 vcc, s20, v0
	s_and_saveexec_b64 s[12:13], vcc
	s_cbranch_execz .LBB7_17
; %bb.15:
	s_mov_b32 s11, 0
	s_lshl_b64 s[14:15], s[10:11], 2
	v_lshl_add_u64 v[10:11], v[6:7], 0, s[14:15]
	v_lshlrev_b32_e32 v14, 4, v0
	v_mov_b32_e32 v15, 0
	v_lshl_add_u64 v[12:13], v[2:3], 0, s[14:15]
	v_lshl_add_u64 v[16:17], v[4:5], 0, s[14:15]
	;; [unrolled: 1-line block ×5, first 2 shown]
	s_mov_b64 s[14:15], 0
	s_mov_b64 s[16:17], 0x1000
	v_mov_b32_e32 v1, v0
.LBB7_16:                               ; =>This Inner Loop Header: Depth=1
	flat_load_dwordx4 v[16:19], v[10:11] nt
	v_add_u32_e32 v1, 0x100, v1
	v_cmp_le_i32_e32 vcc, s20, v1
	v_lshl_add_u64 v[10:11], v[10:11], 0, s[16:17]
	s_or_b64 s[14:15], vcc, s[14:15]
	s_waitcnt vmcnt(0) lgkmcnt(0)
	flat_store_dwordx4 v[12:13], v[16:19]
	flat_store_dwordx4 v[14:15], v[16:19]
	v_lshl_add_u64 v[12:13], v[12:13], 0, s[16:17]
	v_lshl_add_u64 v[14:15], v[14:15], 0, s[16:17]
	s_andn2_b64 exec, exec, s[14:15]
	s_cbranch_execnz .LBB7_16
.LBB7_17:
	s_or_b64 exec, exec, s[12:13]
	s_and_b32 s16, s18, 3
	s_cmp_eq_u32 s16, 0
	s_cbranch_scc1 .LBB7_22
; %bb.18:
	s_and_b32 s4, s19, -4
	s_add_i32 s10, s4, s10
	s_cbranch_execnz .LBB7_23
	s_branch .LBB7_29
.LBB7_19:
	s_mov_b64 s[4:5], 0
                                        ; implicit-def: $vgpr1
	s_branch .LBB7_10
.LBB7_20:
	s_mov_b32 s16, s18
	v_mov_b32_e32 v8, v1
	s_and_b64 vcc, exec, s[4:5]
	s_cbranch_vccnz .LBB7_23
	s_branch .LBB7_29
.LBB7_21:
                                        ; implicit-def: $sgpr16
.LBB7_22:
                                        ; implicit-def: $sgpr10
	s_and_b64 vcc, exec, s[4:5]
	s_cbranch_vccz .LBB7_29
.LBB7_23:
	s_and_b32 s17, s16, 0x7fffff00
	v_cmp_gt_u32_e32 vcc, s17, v8
	s_and_saveexec_b64 s[4:5], vcc
	s_cbranch_execz .LBB7_26
; %bb.24:
	s_ashr_i32 s11, s10, 31
	s_lshl_b64 s[12:13], s[10:11], 2
	v_mov_b32_e32 v9, 0
	v_lshl_add_u64 v[10:11], v[6:7], 0, s[12:13]
	v_lshlrev_b64 v[14:15], 2, v[8:9]
	v_lshl_add_u64 v[12:13], v[2:3], 0, s[12:13]
	v_lshl_add_u64 v[16:17], v[4:5], 0, s[12:13]
	;; [unrolled: 1-line block ×5, first 2 shown]
	s_mov_b64 s[12:13], 0
	s_mov_b64 s[14:15], 0x1000
.LBB7_25:                               ; =>This Inner Loop Header: Depth=1
	flat_load_dword v1, v[10:11] nt
	flat_load_dword v9, v[10:11] offset:256 nt
	flat_load_dword v16, v[10:11] offset:512 nt
	;; [unrolled: 1-line block ×3, first 2 shown]
	v_add_u32_e32 v8, 0x400, v8
	v_cmp_le_u32_e32 vcc, s17, v8
	v_lshl_add_u64 v[10:11], v[10:11], 0, s[14:15]
	s_or_b64 s[12:13], vcc, s[12:13]
	s_waitcnt vmcnt(0) lgkmcnt(0)
	flat_store_dword v[12:13], v1 nt
	flat_store_dword v[12:13], v9 offset:256 nt
	flat_store_dword v[12:13], v16 offset:512 nt
	;; [unrolled: 1-line block ×3, first 2 shown]
	flat_store_dword v[14:15], v1 nt
	flat_store_dword v[14:15], v9 offset:256 nt
	flat_store_dword v[14:15], v16 offset:512 nt
	;; [unrolled: 1-line block ×3, first 2 shown]
	v_lshl_add_u64 v[12:13], v[12:13], 0, s[14:15]
	v_lshl_add_u64 v[14:15], v[14:15], 0, s[14:15]
	s_andn2_b64 exec, exec, s[12:13]
	s_cbranch_execnz .LBB7_25
.LBB7_26:
	s_or_b64 exec, exec, s[4:5]
	s_and_b32 s11, s16, 0xff
	s_cmp_lg_u32 s11, 0
	s_cselect_b64 s[4:5], -1, 0
	v_cmp_gt_u32_e32 vcc, s11, v0
	s_and_b64 s[12:13], s[4:5], vcc
	s_and_saveexec_b64 s[4:5], s[12:13]
	s_cbranch_execz .LBB7_28
; %bb.27:
	s_add_i32 s10, s17, s10
	s_ashr_i32 s11, s10, 31
	s_lshl_b64 s[10:11], s[10:11], 2
	v_lshl_add_u64 v[6:7], v[6:7], 0, s[10:11]
	v_lshlrev_b32_e32 v0, 2, v0
	v_mov_b32_e32 v1, 0
	v_lshl_add_u64 v[6:7], v[6:7], 0, v[0:1]
	flat_load_dword v6, v[6:7] nt
	v_lshl_add_u64 v[2:3], v[2:3], 0, s[10:11]
	v_lshl_add_u64 v[4:5], v[4:5], 0, s[10:11]
	;; [unrolled: 1-line block ×4, first 2 shown]
	s_waitcnt vmcnt(0) lgkmcnt(0)
	flat_store_dword v[2:3], v6 nt
	flat_store_dword v[0:1], v6 nt
.LBB7_28:
	s_or_b64 exec, exec, s[4:5]
.LBB7_29:
	s_waitcnt lgkmcnt(0)
	s_barrier
	s_and_saveexec_b64 s[4:5], s[0:1]
	s_cbranch_execz .LBB7_34
; %bb.30:
	s_memrealtime s[10:11]
	s_mov_b64 s[4:5], exec
	s_lshl_b64 s[0:1], s[2:3], 3
	v_mbcnt_lo_u32_b32 v0, s4, 0
	s_add_u32 s0, s6, s0
	v_mbcnt_hi_u32_b32 v0, s5, v0
	s_addc_u32 s1, s7, s1
	v_cmp_eq_u32_e32 vcc, 0, v0
	s_and_saveexec_b64 s[2:3], vcc
	s_cbranch_execz .LBB7_32
; %bb.31:
	s_waitcnt lgkmcnt(0)
	s_sub_u32 s6, s10, s8
	s_subb_u32 s7, s11, s9
	s_bcnt1_i32_b64 s4, s[4:5]
	s_mul_i32 s7, s7, s4
	s_mul_hi_u32 s5, s6, s4
	s_add_i32 s5, s5, s7
	s_mul_i32 s6, s6, s4
	v_mov_b32_e32 v0, s6
	v_mov_b32_e32 v1, s5
	;; [unrolled: 1-line block ×3, first 2 shown]
	buffer_wbl2 sc0 sc1
	s_waitcnt vmcnt(0)
	global_atomic_add_x2 v2, v[0:1], s[0:1] sc1
	s_waitcnt vmcnt(0)
	buffer_inv sc0 sc1
.LBB7_32:
	s_or_b64 exec, exec, s[2:3]
	s_mov_b64 s[2:3], exec
	v_mbcnt_lo_u32_b32 v0, s2, 0
	v_mbcnt_hi_u32_b32 v0, s3, v0
	v_cmp_eq_u32_e32 vcc, 0, v0
	s_and_b64 s[4:5], exec, vcc
	s_mov_b64 exec, s[4:5]
	s_cbranch_execz .LBB7_34
; %bb.33:
	s_bcnt1_i32_b64 s2, s[2:3]
	s_mul_hi_i32 s3, s18, s2
	s_mul_i32 s2, s18, s2
	s_lshl_b64 s[2:3], s[2:3], 2
	v_mov_b32_e32 v0, 0
	v_mov_b64_e32 v[2:3], s[2:3]
	buffer_wbl2 sc0 sc1
	s_waitcnt vmcnt(0) lgkmcnt(0)
	global_atomic_add_x2 v0, v[2:3], s[0:1] offset:448 sc1
	s_waitcnt vmcnt(0)
	buffer_inv sc0 sc1
.LBB7_34:
	s_endpgm
	.section	.rodata,"a",@progbits
	.p2align	6, 0x0
	.amdhsa_kernel _Z16flag_sync_kernelILi3ELi0EEvP15transfer_data_tP16profiling_data_tm
		.amdhsa_group_segment_fixed_size 0
		.amdhsa_private_segment_fixed_size 0
		.amdhsa_kernarg_size 24
		.amdhsa_user_sgpr_count 2
		.amdhsa_user_sgpr_dispatch_ptr 0
		.amdhsa_user_sgpr_queue_ptr 0
		.amdhsa_user_sgpr_kernarg_segment_ptr 1
		.amdhsa_user_sgpr_dispatch_id 0
		.amdhsa_user_sgpr_kernarg_preload_length 0
		.amdhsa_user_sgpr_kernarg_preload_offset 0
		.amdhsa_user_sgpr_private_segment_size 0
		.amdhsa_uses_dynamic_stack 0
		.amdhsa_enable_private_segment 0
		.amdhsa_system_sgpr_workgroup_id_x 1
		.amdhsa_system_sgpr_workgroup_id_y 0
		.amdhsa_system_sgpr_workgroup_id_z 0
		.amdhsa_system_sgpr_workgroup_info 0
		.amdhsa_system_vgpr_workitem_id 0
		.amdhsa_next_free_vgpr 32
		.amdhsa_next_free_sgpr 21
		.amdhsa_accum_offset 32
		.amdhsa_reserve_vcc 1
		.amdhsa_float_round_mode_32 0
		.amdhsa_float_round_mode_16_64 0
		.amdhsa_float_denorm_mode_32 3
		.amdhsa_float_denorm_mode_16_64 3
		.amdhsa_dx10_clamp 1
		.amdhsa_ieee_mode 1
		.amdhsa_fp16_overflow 0
		.amdhsa_tg_split 0
		.amdhsa_exception_fp_ieee_invalid_op 0
		.amdhsa_exception_fp_denorm_src 0
		.amdhsa_exception_fp_ieee_div_zero 0
		.amdhsa_exception_fp_ieee_overflow 0
		.amdhsa_exception_fp_ieee_underflow 0
		.amdhsa_exception_fp_ieee_inexact 0
		.amdhsa_exception_int_div_zero 0
	.end_amdhsa_kernel
	.section	.text._Z16flag_sync_kernelILi3ELi0EEvP15transfer_data_tP16profiling_data_tm,"axG",@progbits,_Z16flag_sync_kernelILi3ELi0EEvP15transfer_data_tP16profiling_data_tm,comdat
.Lfunc_end7:
	.size	_Z16flag_sync_kernelILi3ELi0EEvP15transfer_data_tP16profiling_data_tm, .Lfunc_end7-_Z16flag_sync_kernelILi3ELi0EEvP15transfer_data_tP16profiling_data_tm
                                        ; -- End function
	.set _Z16flag_sync_kernelILi3ELi0EEvP15transfer_data_tP16profiling_data_tm.num_vgpr, 32
	.set _Z16flag_sync_kernelILi3ELi0EEvP15transfer_data_tP16profiling_data_tm.num_agpr, 0
	.set _Z16flag_sync_kernelILi3ELi0EEvP15transfer_data_tP16profiling_data_tm.numbered_sgpr, 21
	.set _Z16flag_sync_kernelILi3ELi0EEvP15transfer_data_tP16profiling_data_tm.num_named_barrier, 0
	.set _Z16flag_sync_kernelILi3ELi0EEvP15transfer_data_tP16profiling_data_tm.private_seg_size, 0
	.set _Z16flag_sync_kernelILi3ELi0EEvP15transfer_data_tP16profiling_data_tm.uses_vcc, 1
	.set _Z16flag_sync_kernelILi3ELi0EEvP15transfer_data_tP16profiling_data_tm.uses_flat_scratch, 0
	.set _Z16flag_sync_kernelILi3ELi0EEvP15transfer_data_tP16profiling_data_tm.has_dyn_sized_stack, 0
	.set _Z16flag_sync_kernelILi3ELi0EEvP15transfer_data_tP16profiling_data_tm.has_recursion, 0
	.set _Z16flag_sync_kernelILi3ELi0EEvP15transfer_data_tP16profiling_data_tm.has_indirect_call, 0
	.section	.AMDGPU.csdata,"",@progbits
; Kernel info:
; codeLenInByte = 1432
; TotalNumSgprs: 27
; NumVgprs: 32
; NumAgprs: 0
; TotalNumVgprs: 32
; ScratchSize: 0
; MemoryBound: 0
; FloatMode: 240
; IeeeMode: 1
; LDSByteSize: 0 bytes/workgroup (compile time only)
; SGPRBlocks: 3
; VGPRBlocks: 3
; NumSGPRsForWavesPerEU: 27
; NumVGPRsForWavesPerEU: 32
; AccumOffset: 32
; Occupancy: 8
; WaveLimiterHint : 1
; COMPUTE_PGM_RSRC2:SCRATCH_EN: 0
; COMPUTE_PGM_RSRC2:USER_SGPR: 2
; COMPUTE_PGM_RSRC2:TRAP_HANDLER: 0
; COMPUTE_PGM_RSRC2:TGID_X_EN: 1
; COMPUTE_PGM_RSRC2:TGID_Y_EN: 0
; COMPUTE_PGM_RSRC2:TGID_Z_EN: 0
; COMPUTE_PGM_RSRC2:TIDIG_COMP_CNT: 0
; COMPUTE_PGM_RSRC3_GFX90A:ACCUM_OFFSET: 7
; COMPUTE_PGM_RSRC3_GFX90A:TG_SPLIT: 0
	.section	.text._Z16flag_sync_kernelILi3ELi1EEvP15transfer_data_tP16profiling_data_tm,"axG",@progbits,_Z16flag_sync_kernelILi3ELi1EEvP15transfer_data_tP16profiling_data_tm,comdat
	.protected	_Z16flag_sync_kernelILi3ELi1EEvP15transfer_data_tP16profiling_data_tm ; -- Begin function _Z16flag_sync_kernelILi3ELi1EEvP15transfer_data_tP16profiling_data_tm
	.globl	_Z16flag_sync_kernelILi3ELi1EEvP15transfer_data_tP16profiling_data_tm
	.p2align	8
	.type	_Z16flag_sync_kernelILi3ELi1EEvP15transfer_data_tP16profiling_data_tm,@function
_Z16flag_sync_kernelILi3ELi1EEvP15transfer_data_tP16profiling_data_tm: ; @_Z16flag_sync_kernelILi3ELi1EEvP15transfer_data_tP16profiling_data_tm
; %bb.0:
	s_load_dwordx4 s[4:7], s[0:1], 0x0
	s_load_dwordx2 s[8:9], s[0:1], 0x10
	v_cmp_eq_u32_e64 s[0:1], 0, v0
	s_waitcnt lgkmcnt(0)
	s_load_dword s18, s[4:5], 0x8c0
	s_and_saveexec_b64 s[10:11], s[0:1]
	s_cbranch_execz .LBB8_10
; %bb.1:
	s_load_dword s12, s[4:5], 0x8c4
	s_load_dwordx2 s[16:17], s[4:5], 0x8d0
	s_mov_b64 s[14:15], src_private_base
	s_waitcnt lgkmcnt(0)
	s_ashr_i32 s13, s12, 31
	s_lshl_b64 s[12:13], s[12:13], 3
	s_add_u32 s12, s16, s12
	s_addc_u32 s13, s17, s13
	s_cmp_eq_u32 s13, s15
	s_cselect_b64 s[14:15], -1, 0
	s_andn2_b64 vcc, exec, s[14:15]
	s_mov_b64 s[14:15], -1
	s_cbranch_vccz .LBB8_3
; %bb.2:
	v_mov_b64_e32 v[2:3], 1
	v_mov_b64_e32 v[4:5], s[12:13]
	buffer_wbl2 sc0 sc1
	flat_atomic_add_x2 v[4:5], v[2:3] sc1
	s_waitcnt vmcnt(0) lgkmcnt(0)
	buffer_inv sc0 sc1
	s_mov_b64 s[14:15], 0
.LBB8_3:
	s_andn2_b64 vcc, exec, s[14:15]
	s_cbranch_vccnz .LBB8_5
; %bb.4:
	s_cmp_lg_u64 s[12:13], 0
	s_cselect_b32 s3, s12, -1
	scratch_load_dwordx2 v[2:3], off, s3
	s_waitcnt vmcnt(0)
	v_lshl_add_u64 v[2:3], v[2:3], 0, 1
	scratch_store_dwordx2 off, v[2:3], s3
.LBB8_5:
	v_mov_b32_e32 v1, 0
	global_load_dword v2, v1, s[4:5] offset:2248
	s_waitcnt vmcnt(0)
	v_cmp_gt_i32_e32 vcc, 1, v2
	s_cbranch_vccnz .LBB8_10
; %bb.6:
	s_mov_b32 s13, 0
	s_mov_b32 s12, s13
.LBB8_7:                                ; =>This Loop Header: Depth=1
                                        ;     Child Loop BB8_8 Depth 2
	s_mov_b64 s[14:15], 0
	s_lshl_b64 s[16:17], s[12:13], 3
.LBB8_8:                                ;   Parent Loop BB8_7 Depth=1
                                        ; =>  This Inner Loop Header: Depth=2
	global_load_dwordx2 v[2:3], v1, s[4:5] offset:2256
	s_waitcnt vmcnt(0)
	v_lshl_add_u64 v[2:3], v[2:3], 0, s[16:17]
	flat_load_dwordx2 v[2:3], v[2:3] sc0 sc1
	s_waitcnt vmcnt(0) lgkmcnt(0)
	buffer_inv sc0 sc1
	v_cmp_le_u64_e32 vcc, s[8:9], v[2:3]
	s_or_b64 s[14:15], vcc, s[14:15]
	s_andn2_b64 exec, exec, s[14:15]
	s_cbranch_execnz .LBB8_8
; %bb.9:                                ;   in Loop: Header=BB8_7 Depth=1
	s_or_b64 exec, exec, s[14:15]
	global_load_dword v2, v1, s[4:5] offset:2248
	s_add_i32 s12, s12, 1
	s_waitcnt vmcnt(0)
	v_cmp_lt_i32_e32 vcc, s12, v2
	s_cbranch_vccnz .LBB8_7
.LBB8_10:
	s_or_b64 exec, exec, s[10:11]
	s_waitcnt lgkmcnt(0)
	s_barrier
                                        ; implicit-def: $sgpr8_sgpr9
	s_and_saveexec_b64 s[10:11], s[0:1]
; %bb.11:
	s_memrealtime s[8:9]
; %bb.12:
	s_or_b64 exec, exec, s[10:11]
	s_ashr_i32 s3, s2, 31
	s_cmp_lt_i32 s18, 1
	s_cbranch_scc1 .LBB8_34
; %bb.13:
	s_lshl_b64 s[10:11], s[2:3], 3
	s_add_u32 s4, s4, s10
	s_addc_u32 s5, s5, s11
	v_mov_b32_e32 v1, 0
	global_load_dwordx2 v[6:7], v1, s[4:5] offset:448
	global_load_dwordx2 v[2:3], v1, s[4:5] offset:896
	;; [unrolled: 1-line block ×3, first 2 shown]
	v_lshrrev_b32_e32 v1, 6, v0
	v_and_b32_e32 v9, 63, v0
	s_mov_b32 s10, 0
	s_waitcnt vmcnt(1)
	v_or_b32_e32 v8, v2, v6
	s_waitcnt vmcnt(0)
	v_or_b32_e32 v8, v8, v4
	v_and_b32_e32 v8, 3, v8
	v_cmp_eq_u32_e32 vcc, 0, v8
	v_lshl_or_b32 v8, v1, 8, v9
	s_cbranch_vccnz .LBB8_24
; %bb.14:
	v_lshl_or_b32 v1, v1, 8, v9
	s_mov_b64 s[4:5], -1
	s_cbranch_execnz .LBB8_25
.LBB8_15:
	s_lshr_b32 s10, s18, 2
	s_and_b32 s16, s10, 0x1fffff00
	v_cmp_gt_u32_e32 vcc, s16, v8
	s_and_saveexec_b64 s[10:11], vcc
	s_cbranch_execz .LBB8_18
; %bb.16:
	v_lshlrev_b32_e32 v14, 4, v8
	v_mov_b32_e32 v15, 0
	v_lshl_add_u64 v[10:11], v[6:7], 0, v[14:15]
	v_lshl_add_u64 v[12:13], v[4:5], 0, v[14:15]
	;; [unrolled: 1-line block ×3, first 2 shown]
	s_mov_b64 s[12:13], 0
	s_mov_b64 s[14:15], 0x4000
	v_mov_b32_e32 v1, v8
.LBB8_17:                               ; =>This Inner Loop Header: Depth=1
	flat_load_dwordx4 v[16:19], v[10:11] nt
	flat_load_dwordx4 v[20:23], v[10:11] offset:1024 nt
	flat_load_dwordx4 v[24:27], v[10:11] offset:2048 nt
	;; [unrolled: 1-line block ×3, first 2 shown]
	v_add_u32_e32 v1, 0x400, v1
	v_cmp_le_u32_e32 vcc, s16, v1
	v_lshl_add_u64 v[10:11], v[10:11], 0, s[14:15]
	s_or_b64 s[12:13], vcc, s[12:13]
	s_waitcnt vmcnt(0) lgkmcnt(0)
	flat_store_dwordx4 v[14:15], v[16:19] nt
	flat_store_dwordx4 v[14:15], v[20:23] offset:1024 nt
	flat_store_dwordx4 v[14:15], v[24:27] offset:2048 nt
	;; [unrolled: 1-line block ×3, first 2 shown]
	flat_store_dwordx4 v[12:13], v[16:19] nt
	flat_store_dwordx4 v[12:13], v[20:23] offset:1024 nt
	flat_store_dwordx4 v[12:13], v[24:27] offset:2048 nt
	;; [unrolled: 1-line block ×3, first 2 shown]
	v_lshl_add_u64 v[14:15], v[14:15], 0, s[14:15]
	v_lshl_add_u64 v[12:13], v[12:13], 0, s[14:15]
	s_andn2_b64 exec, exec, s[12:13]
	s_cbranch_execnz .LBB8_17
.LBB8_18:
	s_or_b64 exec, exec, s[10:11]
	s_lshl_b32 s10, s16, 2
	s_cmp_eq_u32 s18, s10
	s_cbranch_scc1 .LBB8_26
; %bb.19:
	s_sub_i32 s19, s18, s10
	s_ashr_i32 s20, s19, 2
	v_cmp_gt_i32_e32 vcc, s20, v0
	s_and_saveexec_b64 s[12:13], vcc
	s_cbranch_execz .LBB8_22
; %bb.20:
	s_mov_b32 s11, 0
	s_lshl_b64 s[14:15], s[10:11], 2
	v_lshl_add_u64 v[10:11], v[6:7], 0, s[14:15]
	v_lshlrev_b32_e32 v14, 4, v0
	v_mov_b32_e32 v15, 0
	v_lshl_add_u64 v[12:13], v[2:3], 0, s[14:15]
	v_lshl_add_u64 v[16:17], v[4:5], 0, s[14:15]
	;; [unrolled: 1-line block ×5, first 2 shown]
	s_mov_b64 s[14:15], 0
	s_mov_b64 s[16:17], 0x1000
	v_mov_b32_e32 v1, v0
.LBB8_21:                               ; =>This Inner Loop Header: Depth=1
	flat_load_dwordx4 v[16:19], v[10:11] nt
	v_add_u32_e32 v1, 0x100, v1
	v_cmp_le_i32_e32 vcc, s20, v1
	v_lshl_add_u64 v[10:11], v[10:11], 0, s[16:17]
	s_or_b64 s[14:15], vcc, s[14:15]
	s_waitcnt vmcnt(0) lgkmcnt(0)
	flat_store_dwordx4 v[12:13], v[16:19]
	flat_store_dwordx4 v[14:15], v[16:19]
	v_lshl_add_u64 v[12:13], v[12:13], 0, s[16:17]
	v_lshl_add_u64 v[14:15], v[14:15], 0, s[16:17]
	s_andn2_b64 exec, exec, s[14:15]
	s_cbranch_execnz .LBB8_21
.LBB8_22:
	s_or_b64 exec, exec, s[12:13]
	s_and_b32 s16, s18, 3
	s_cmp_eq_u32 s16, 0
	s_cbranch_scc1 .LBB8_27
; %bb.23:
	s_and_b32 s4, s19, -4
	s_add_i32 s10, s4, s10
	s_cbranch_execnz .LBB8_28
	s_branch .LBB8_34
.LBB8_24:
	s_mov_b64 s[4:5], 0
                                        ; implicit-def: $vgpr1
	s_branch .LBB8_15
.LBB8_25:
	s_mov_b32 s16, s18
	v_mov_b32_e32 v8, v1
	s_and_b64 vcc, exec, s[4:5]
	s_cbranch_vccnz .LBB8_28
	s_branch .LBB8_34
.LBB8_26:
                                        ; implicit-def: $sgpr16
.LBB8_27:
                                        ; implicit-def: $sgpr10
	s_and_b64 vcc, exec, s[4:5]
	s_cbranch_vccz .LBB8_34
.LBB8_28:
	s_and_b32 s17, s16, 0x7fffff00
	v_cmp_gt_u32_e32 vcc, s17, v8
	s_and_saveexec_b64 s[4:5], vcc
	s_cbranch_execz .LBB8_31
; %bb.29:
	s_ashr_i32 s11, s10, 31
	s_lshl_b64 s[12:13], s[10:11], 2
	v_mov_b32_e32 v9, 0
	v_lshl_add_u64 v[10:11], v[6:7], 0, s[12:13]
	v_lshlrev_b64 v[14:15], 2, v[8:9]
	v_lshl_add_u64 v[12:13], v[2:3], 0, s[12:13]
	v_lshl_add_u64 v[16:17], v[4:5], 0, s[12:13]
	;; [unrolled: 1-line block ×5, first 2 shown]
	s_mov_b64 s[12:13], 0
	s_mov_b64 s[14:15], 0x1000
.LBB8_30:                               ; =>This Inner Loop Header: Depth=1
	flat_load_dword v1, v[10:11] nt
	flat_load_dword v9, v[10:11] offset:256 nt
	flat_load_dword v16, v[10:11] offset:512 nt
	;; [unrolled: 1-line block ×3, first 2 shown]
	v_add_u32_e32 v8, 0x400, v8
	v_cmp_le_u32_e32 vcc, s17, v8
	v_lshl_add_u64 v[10:11], v[10:11], 0, s[14:15]
	s_or_b64 s[12:13], vcc, s[12:13]
	s_waitcnt vmcnt(0) lgkmcnt(0)
	flat_store_dword v[12:13], v1 nt
	flat_store_dword v[12:13], v9 offset:256 nt
	flat_store_dword v[12:13], v16 offset:512 nt
	;; [unrolled: 1-line block ×3, first 2 shown]
	flat_store_dword v[14:15], v1 nt
	flat_store_dword v[14:15], v9 offset:256 nt
	flat_store_dword v[14:15], v16 offset:512 nt
	;; [unrolled: 1-line block ×3, first 2 shown]
	v_lshl_add_u64 v[12:13], v[12:13], 0, s[14:15]
	v_lshl_add_u64 v[14:15], v[14:15], 0, s[14:15]
	s_andn2_b64 exec, exec, s[12:13]
	s_cbranch_execnz .LBB8_30
.LBB8_31:
	s_or_b64 exec, exec, s[4:5]
	s_and_b32 s11, s16, 0xff
	s_cmp_lg_u32 s11, 0
	s_cselect_b64 s[4:5], -1, 0
	v_cmp_gt_u32_e32 vcc, s11, v0
	s_and_b64 s[12:13], s[4:5], vcc
	s_and_saveexec_b64 s[4:5], s[12:13]
	s_cbranch_execz .LBB8_33
; %bb.32:
	s_add_i32 s10, s17, s10
	s_ashr_i32 s11, s10, 31
	s_lshl_b64 s[10:11], s[10:11], 2
	v_lshl_add_u64 v[6:7], v[6:7], 0, s[10:11]
	v_lshlrev_b32_e32 v0, 2, v0
	v_mov_b32_e32 v1, 0
	v_lshl_add_u64 v[6:7], v[6:7], 0, v[0:1]
	flat_load_dword v6, v[6:7] nt
	v_lshl_add_u64 v[2:3], v[2:3], 0, s[10:11]
	v_lshl_add_u64 v[4:5], v[4:5], 0, s[10:11]
	;; [unrolled: 1-line block ×4, first 2 shown]
	s_waitcnt vmcnt(0) lgkmcnt(0)
	flat_store_dword v[2:3], v6 nt
	flat_store_dword v[0:1], v6 nt
.LBB8_33:
	s_or_b64 exec, exec, s[4:5]
.LBB8_34:
	s_waitcnt lgkmcnt(0)
	s_barrier
	s_and_saveexec_b64 s[4:5], s[0:1]
	s_cbranch_execz .LBB8_39
; %bb.35:
	s_memrealtime s[10:11]
	s_mov_b64 s[4:5], exec
	s_lshl_b64 s[0:1], s[2:3], 3
	v_mbcnt_lo_u32_b32 v0, s4, 0
	s_add_u32 s0, s6, s0
	v_mbcnt_hi_u32_b32 v0, s5, v0
	s_addc_u32 s1, s7, s1
	v_cmp_eq_u32_e32 vcc, 0, v0
	s_and_saveexec_b64 s[2:3], vcc
	s_cbranch_execz .LBB8_37
; %bb.36:
	s_waitcnt lgkmcnt(0)
	s_sub_u32 s6, s10, s8
	s_subb_u32 s7, s11, s9
	s_bcnt1_i32_b64 s4, s[4:5]
	s_mul_i32 s7, s7, s4
	s_mul_hi_u32 s5, s6, s4
	s_add_i32 s5, s5, s7
	s_mul_i32 s6, s6, s4
	v_mov_b32_e32 v0, s6
	v_mov_b32_e32 v1, s5
	;; [unrolled: 1-line block ×3, first 2 shown]
	buffer_wbl2 sc0 sc1
	s_waitcnt vmcnt(0)
	global_atomic_add_x2 v2, v[0:1], s[0:1] sc1
	s_waitcnt vmcnt(0)
	buffer_inv sc0 sc1
.LBB8_37:
	s_or_b64 exec, exec, s[2:3]
	s_mov_b64 s[2:3], exec
	v_mbcnt_lo_u32_b32 v0, s2, 0
	v_mbcnt_hi_u32_b32 v0, s3, v0
	v_cmp_eq_u32_e32 vcc, 0, v0
	s_and_b64 s[4:5], exec, vcc
	s_mov_b64 exec, s[4:5]
	s_cbranch_execz .LBB8_39
; %bb.38:
	s_bcnt1_i32_b64 s2, s[2:3]
	s_mul_hi_i32 s3, s18, s2
	s_mul_i32 s2, s18, s2
	s_lshl_b64 s[2:3], s[2:3], 2
	v_mov_b32_e32 v0, 0
	v_mov_b64_e32 v[2:3], s[2:3]
	buffer_wbl2 sc0 sc1
	s_waitcnt vmcnt(0) lgkmcnt(0)
	global_atomic_add_x2 v0, v[2:3], s[0:1] offset:448 sc1
	s_waitcnt vmcnt(0)
	buffer_inv sc0 sc1
.LBB8_39:
	s_endpgm
	.section	.rodata,"a",@progbits
	.p2align	6, 0x0
	.amdhsa_kernel _Z16flag_sync_kernelILi3ELi1EEvP15transfer_data_tP16profiling_data_tm
		.amdhsa_group_segment_fixed_size 0
		.amdhsa_private_segment_fixed_size 0
		.amdhsa_kernarg_size 24
		.amdhsa_user_sgpr_count 2
		.amdhsa_user_sgpr_dispatch_ptr 0
		.amdhsa_user_sgpr_queue_ptr 0
		.amdhsa_user_sgpr_kernarg_segment_ptr 1
		.amdhsa_user_sgpr_dispatch_id 0
		.amdhsa_user_sgpr_kernarg_preload_length 0
		.amdhsa_user_sgpr_kernarg_preload_offset 0
		.amdhsa_user_sgpr_private_segment_size 0
		.amdhsa_uses_dynamic_stack 0
		.amdhsa_enable_private_segment 0
		.amdhsa_system_sgpr_workgroup_id_x 1
		.amdhsa_system_sgpr_workgroup_id_y 0
		.amdhsa_system_sgpr_workgroup_id_z 0
		.amdhsa_system_sgpr_workgroup_info 0
		.amdhsa_system_vgpr_workitem_id 0
		.amdhsa_next_free_vgpr 32
		.amdhsa_next_free_sgpr 21
		.amdhsa_accum_offset 32
		.amdhsa_reserve_vcc 1
		.amdhsa_float_round_mode_32 0
		.amdhsa_float_round_mode_16_64 0
		.amdhsa_float_denorm_mode_32 3
		.amdhsa_float_denorm_mode_16_64 3
		.amdhsa_dx10_clamp 1
		.amdhsa_ieee_mode 1
		.amdhsa_fp16_overflow 0
		.amdhsa_tg_split 0
		.amdhsa_exception_fp_ieee_invalid_op 0
		.amdhsa_exception_fp_denorm_src 0
		.amdhsa_exception_fp_ieee_div_zero 0
		.amdhsa_exception_fp_ieee_overflow 0
		.amdhsa_exception_fp_ieee_underflow 0
		.amdhsa_exception_fp_ieee_inexact 0
		.amdhsa_exception_int_div_zero 0
	.end_amdhsa_kernel
	.section	.text._Z16flag_sync_kernelILi3ELi1EEvP15transfer_data_tP16profiling_data_tm,"axG",@progbits,_Z16flag_sync_kernelILi3ELi1EEvP15transfer_data_tP16profiling_data_tm,comdat
.Lfunc_end8:
	.size	_Z16flag_sync_kernelILi3ELi1EEvP15transfer_data_tP16profiling_data_tm, .Lfunc_end8-_Z16flag_sync_kernelILi3ELi1EEvP15transfer_data_tP16profiling_data_tm
                                        ; -- End function
	.set _Z16flag_sync_kernelILi3ELi1EEvP15transfer_data_tP16profiling_data_tm.num_vgpr, 32
	.set _Z16flag_sync_kernelILi3ELi1EEvP15transfer_data_tP16profiling_data_tm.num_agpr, 0
	.set _Z16flag_sync_kernelILi3ELi1EEvP15transfer_data_tP16profiling_data_tm.numbered_sgpr, 21
	.set _Z16flag_sync_kernelILi3ELi1EEvP15transfer_data_tP16profiling_data_tm.num_named_barrier, 0
	.set _Z16flag_sync_kernelILi3ELi1EEvP15transfer_data_tP16profiling_data_tm.private_seg_size, 0
	.set _Z16flag_sync_kernelILi3ELi1EEvP15transfer_data_tP16profiling_data_tm.uses_vcc, 1
	.set _Z16flag_sync_kernelILi3ELi1EEvP15transfer_data_tP16profiling_data_tm.uses_flat_scratch, 0
	.set _Z16flag_sync_kernelILi3ELi1EEvP15transfer_data_tP16profiling_data_tm.has_dyn_sized_stack, 0
	.set _Z16flag_sync_kernelILi3ELi1EEvP15transfer_data_tP16profiling_data_tm.has_recursion, 0
	.set _Z16flag_sync_kernelILi3ELi1EEvP15transfer_data_tP16profiling_data_tm.has_indirect_call, 0
	.section	.AMDGPU.csdata,"",@progbits
; Kernel info:
; codeLenInByte = 1564
; TotalNumSgprs: 27
; NumVgprs: 32
; NumAgprs: 0
; TotalNumVgprs: 32
; ScratchSize: 0
; MemoryBound: 0
; FloatMode: 240
; IeeeMode: 1
; LDSByteSize: 0 bytes/workgroup (compile time only)
; SGPRBlocks: 3
; VGPRBlocks: 3
; NumSGPRsForWavesPerEU: 27
; NumVGPRsForWavesPerEU: 32
; AccumOffset: 32
; Occupancy: 8
; WaveLimiterHint : 1
; COMPUTE_PGM_RSRC2:SCRATCH_EN: 0
; COMPUTE_PGM_RSRC2:USER_SGPR: 2
; COMPUTE_PGM_RSRC2:TRAP_HANDLER: 0
; COMPUTE_PGM_RSRC2:TGID_X_EN: 1
; COMPUTE_PGM_RSRC2:TGID_Y_EN: 0
; COMPUTE_PGM_RSRC2:TGID_Z_EN: 0
; COMPUTE_PGM_RSRC2:TIDIG_COMP_CNT: 0
; COMPUTE_PGM_RSRC3_GFX90A:ACCUM_OFFSET: 7
; COMPUTE_PGM_RSRC3_GFX90A:TG_SPLIT: 0
	.section	.text._Z16flag_sync_kernelILi4ELi0EEvP15transfer_data_tP16profiling_data_tm,"axG",@progbits,_Z16flag_sync_kernelILi4ELi0EEvP15transfer_data_tP16profiling_data_tm,comdat
	.protected	_Z16flag_sync_kernelILi4ELi0EEvP15transfer_data_tP16profiling_data_tm ; -- Begin function _Z16flag_sync_kernelILi4ELi0EEvP15transfer_data_tP16profiling_data_tm
	.globl	_Z16flag_sync_kernelILi4ELi0EEvP15transfer_data_tP16profiling_data_tm
	.p2align	8
	.type	_Z16flag_sync_kernelILi4ELi0EEvP15transfer_data_tP16profiling_data_tm,@function
_Z16flag_sync_kernelILi4ELi0EEvP15transfer_data_tP16profiling_data_tm: ; @_Z16flag_sync_kernelILi4ELi0EEvP15transfer_data_tP16profiling_data_tm
; %bb.0:
	s_load_dwordx4 s[4:7], s[0:1], 0x0
	v_cmp_eq_u32_e64 s[0:1], 0, v0
	s_waitcnt lgkmcnt(0)
	s_load_dword s18, s[4:5], 0x8c0
	s_and_saveexec_b64 s[8:9], s[0:1]
	s_cbranch_execz .LBB9_5
; %bb.1:
	s_load_dword s10, s[4:5], 0x8c4
	s_load_dwordx2 s[14:15], s[4:5], 0x8d0
	s_mov_b64 s[12:13], src_private_base
	s_waitcnt lgkmcnt(0)
	s_ashr_i32 s11, s10, 31
	s_lshl_b64 s[10:11], s[10:11], 3
	s_add_u32 s10, s14, s10
	s_addc_u32 s11, s15, s11
	s_cmp_eq_u32 s11, s13
	s_cselect_b64 s[12:13], -1, 0
	s_andn2_b64 vcc, exec, s[12:13]
	s_mov_b64 s[12:13], -1
	s_cbranch_vccz .LBB9_3
; %bb.2:
	v_mov_b64_e32 v[2:3], 1
	v_mov_b64_e32 v[4:5], s[10:11]
	buffer_wbl2 sc0 sc1
	flat_atomic_add_x2 v[4:5], v[2:3] sc1
	s_waitcnt vmcnt(0) lgkmcnt(0)
	buffer_inv sc0 sc1
	s_mov_b64 s[12:13], 0
.LBB9_3:
	s_andn2_b64 vcc, exec, s[12:13]
	s_cbranch_vccnz .LBB9_5
; %bb.4:
	s_cmp_lg_u64 s[10:11], 0
	s_cselect_b32 s3, s10, -1
	scratch_load_dwordx2 v[2:3], off, s3
	s_waitcnt vmcnt(0)
	v_lshl_add_u64 v[2:3], v[2:3], 0, 1
	scratch_store_dwordx2 off, v[2:3], s3
.LBB9_5:
	s_or_b64 exec, exec, s[8:9]
	s_waitcnt lgkmcnt(0)
	s_barrier
                                        ; implicit-def: $sgpr8_sgpr9
	s_and_saveexec_b64 s[10:11], s[0:1]
; %bb.6:
	s_memrealtime s[8:9]
; %bb.7:
	s_or_b64 exec, exec, s[10:11]
	s_ashr_i32 s3, s2, 31
	s_cmp_lt_i32 s18, 1
	s_cbranch_scc1 .LBB9_29
; %bb.8:
	s_lshl_b64 s[10:11], s[2:3], 3
	s_add_u32 s4, s4, s10
	s_addc_u32 s5, s5, s11
	v_mov_b32_e32 v1, 0
	global_load_dwordx2 v[6:7], v1, s[4:5] offset:448
	global_load_dwordx2 v[4:5], v1, s[4:5] offset:1792
	global_load_dwordx2 v[2:3], v1, s[4:5]
	v_lshrrev_b32_e32 v1, 6, v0
	v_and_b32_e32 v9, 63, v0
	s_mov_b32 s10, 0
	s_waitcnt vmcnt(1)
	v_or_b32_e32 v8, v4, v6
	s_waitcnt vmcnt(0)
	v_or_b32_e32 v8, v8, v2
	v_and_b32_e32 v8, 3, v8
	v_cmp_eq_u32_e32 vcc, 0, v8
	v_lshl_or_b32 v8, v1, 8, v9
	s_cbranch_vccnz .LBB9_19
; %bb.9:
	v_lshl_or_b32 v1, v1, 8, v9
	s_mov_b64 s[4:5], -1
	s_cbranch_execnz .LBB9_20
.LBB9_10:
	s_lshr_b32 s10, s18, 2
	s_and_b32 s16, s10, 0x1fffff00
	v_cmp_gt_u32_e32 vcc, s16, v8
	s_and_saveexec_b64 s[10:11], vcc
	s_cbranch_execz .LBB9_13
; %bb.11:
	v_lshlrev_b32_e32 v14, 4, v8
	v_mov_b32_e32 v15, 0
	v_lshl_add_u64 v[10:11], v[4:5], 0, v[14:15]
	v_lshl_add_u64 v[12:13], v[6:7], 0, v[14:15]
	;; [unrolled: 1-line block ×3, first 2 shown]
	s_mov_b64 s[12:13], 0
	s_mov_b64 s[14:15], 0x4000
	v_mov_b32_e32 v1, v8
.LBB9_12:                               ; =>This Inner Loop Header: Depth=1
	flat_load_dwordx4 v[16:19], v[10:11] nt
	flat_load_dwordx4 v[20:23], v[12:13] nt
	flat_load_dwordx4 v[24:27], v[12:13] offset:1024 nt
	flat_load_dwordx4 v[28:31], v[10:11] offset:1024 nt
	;; [unrolled: 1-line block ×6, first 2 shown]
	v_add_u32_e32 v1, 0x400, v1
	v_cmp_le_u32_e32 vcc, s16, v1
	v_lshl_add_u64 v[12:13], v[12:13], 0, s[14:15]
	v_lshl_add_u64 v[10:11], v[10:11], 0, s[14:15]
	s_or_b64 s[12:13], vcc, s[12:13]
	s_waitcnt vmcnt(0) lgkmcnt(0)
	v_add_f32_e32 v16, v20, v16
	v_add_f32_e32 v17, v21, v17
	;; [unrolled: 1-line block ×16, first 2 shown]
	flat_store_dwordx4 v[14:15], v[16:19] nt
	flat_store_dwordx4 v[14:15], v[20:23] offset:1024 nt
	flat_store_dwordx4 v[14:15], v[24:27] offset:2048 nt
	;; [unrolled: 1-line block ×3, first 2 shown]
	v_lshl_add_u64 v[14:15], v[14:15], 0, s[14:15]
	s_andn2_b64 exec, exec, s[12:13]
	s_cbranch_execnz .LBB9_12
.LBB9_13:
	s_or_b64 exec, exec, s[10:11]
	s_lshl_b32 s10, s16, 2
	s_cmp_eq_u32 s18, s10
	s_cbranch_scc1 .LBB9_21
; %bb.14:
	s_sub_i32 s19, s18, s10
	s_ashr_i32 s20, s19, 2
	v_cmp_gt_i32_e32 vcc, s20, v0
	s_and_saveexec_b64 s[12:13], vcc
	s_cbranch_execz .LBB9_17
; %bb.15:
	s_mov_b32 s11, 0
	s_lshl_b64 s[14:15], s[10:11], 2
	v_lshl_add_u64 v[10:11], v[2:3], 0, s[14:15]
	v_lshlrev_b32_e32 v14, 4, v0
	v_mov_b32_e32 v15, 0
	v_lshl_add_u64 v[12:13], v[6:7], 0, s[14:15]
	v_lshl_add_u64 v[16:17], v[4:5], 0, s[14:15]
	;; [unrolled: 1-line block ×5, first 2 shown]
	s_mov_b64 s[14:15], 0
	s_mov_b64 s[16:17], 0x1000
	v_mov_b32_e32 v1, v0
.LBB9_16:                               ; =>This Inner Loop Header: Depth=1
	flat_load_dwordx4 v[16:19], v[12:13] nt
	flat_load_dwordx4 v[20:23], v[14:15] nt
	v_add_u32_e32 v1, 0x100, v1
	v_cmp_le_i32_e32 vcc, s20, v1
	v_lshl_add_u64 v[12:13], v[12:13], 0, s[16:17]
	v_lshl_add_u64 v[14:15], v[14:15], 0, s[16:17]
	s_or_b64 s[14:15], vcc, s[14:15]
	s_waitcnt vmcnt(0) lgkmcnt(0)
	v_add_f32_e32 v16, v16, v20
	v_add_f32_e32 v17, v17, v21
	;; [unrolled: 1-line block ×4, first 2 shown]
	flat_store_dwordx4 v[10:11], v[16:19]
	v_lshl_add_u64 v[10:11], v[10:11], 0, s[16:17]
	s_andn2_b64 exec, exec, s[14:15]
	s_cbranch_execnz .LBB9_16
.LBB9_17:
	s_or_b64 exec, exec, s[12:13]
	s_and_b32 s16, s18, 3
	s_cmp_eq_u32 s16, 0
	s_cbranch_scc1 .LBB9_22
; %bb.18:
	s_and_b32 s4, s19, -4
	s_add_i32 s10, s4, s10
	s_cbranch_execnz .LBB9_23
	s_branch .LBB9_29
.LBB9_19:
	s_mov_b64 s[4:5], 0
                                        ; implicit-def: $vgpr1
	s_branch .LBB9_10
.LBB9_20:
	s_mov_b32 s16, s18
	v_mov_b32_e32 v8, v1
	s_and_b64 vcc, exec, s[4:5]
	s_cbranch_vccnz .LBB9_23
	s_branch .LBB9_29
.LBB9_21:
                                        ; implicit-def: $sgpr16
.LBB9_22:
                                        ; implicit-def: $sgpr10
	s_and_b64 vcc, exec, s[4:5]
	s_cbranch_vccz .LBB9_29
.LBB9_23:
	s_and_b32 s17, s16, 0x7fffff00
	v_cmp_gt_u32_e32 vcc, s17, v8
	s_and_saveexec_b64 s[4:5], vcc
	s_cbranch_execz .LBB9_26
; %bb.24:
	s_ashr_i32 s11, s10, 31
	s_lshl_b64 s[12:13], s[10:11], 2
	v_mov_b32_e32 v9, 0
	v_lshl_add_u64 v[10:11], v[2:3], 0, s[12:13]
	v_lshlrev_b64 v[14:15], 2, v[8:9]
	v_lshl_add_u64 v[12:13], v[6:7], 0, s[12:13]
	v_lshl_add_u64 v[16:17], v[4:5], 0, s[12:13]
	;; [unrolled: 1-line block ×5, first 2 shown]
	s_mov_b64 s[12:13], 0
	s_mov_b64 s[14:15], 0x1000
.LBB9_25:                               ; =>This Inner Loop Header: Depth=1
	flat_load_dword v1, v[12:13] nt
	flat_load_dword v9, v[12:13] offset:256 nt
	flat_load_dword v16, v[12:13] offset:512 nt
	;; [unrolled: 1-line block ×3, first 2 shown]
	flat_load_dword v18, v[14:15] nt
	flat_load_dword v19, v[14:15] offset:256 nt
	flat_load_dword v20, v[14:15] offset:512 nt
	;; [unrolled: 1-line block ×3, first 2 shown]
	v_add_u32_e32 v8, 0x400, v8
	v_cmp_le_u32_e32 vcc, s17, v8
	v_lshl_add_u64 v[12:13], v[12:13], 0, s[14:15]
	v_lshl_add_u64 v[14:15], v[14:15], 0, s[14:15]
	s_or_b64 s[12:13], vcc, s[12:13]
	s_waitcnt vmcnt(0) lgkmcnt(0)
	v_add_f32_e32 v1, v1, v18
	v_add_f32_e32 v9, v9, v19
	;; [unrolled: 1-line block ×4, first 2 shown]
	flat_store_dword v[10:11], v1 nt
	flat_store_dword v[10:11], v9 offset:256 nt
	flat_store_dword v[10:11], v16 offset:512 nt
	;; [unrolled: 1-line block ×3, first 2 shown]
	v_lshl_add_u64 v[10:11], v[10:11], 0, s[14:15]
	s_andn2_b64 exec, exec, s[12:13]
	s_cbranch_execnz .LBB9_25
.LBB9_26:
	s_or_b64 exec, exec, s[4:5]
	s_and_b32 s11, s16, 0xff
	s_cmp_lg_u32 s11, 0
	s_cselect_b64 s[4:5], -1, 0
	v_cmp_gt_u32_e32 vcc, s11, v0
	s_and_b64 s[12:13], s[4:5], vcc
	s_and_saveexec_b64 s[4:5], s[12:13]
	s_cbranch_execz .LBB9_28
; %bb.27:
	s_add_i32 s10, s17, s10
	s_ashr_i32 s11, s10, 31
	s_lshl_b64 s[10:11], s[10:11], 2
	v_lshlrev_b32_e32 v0, 2, v0
	v_mov_b32_e32 v1, 0
	v_lshl_add_u64 v[6:7], v[6:7], 0, s[10:11]
	v_lshl_add_u64 v[6:7], v[6:7], 0, v[0:1]
	;; [unrolled: 1-line block ×4, first 2 shown]
	flat_load_dword v8, v[6:7] nt
	flat_load_dword v9, v[4:5] nt
	v_lshl_add_u64 v[2:3], v[2:3], 0, s[10:11]
	v_lshl_add_u64 v[0:1], v[2:3], 0, v[0:1]
	s_waitcnt vmcnt(0) lgkmcnt(0)
	v_add_f32_e32 v2, v8, v9
	flat_store_dword v[0:1], v2 nt
.LBB9_28:
	s_or_b64 exec, exec, s[4:5]
.LBB9_29:
	s_waitcnt lgkmcnt(0)
	s_barrier
	s_and_saveexec_b64 s[4:5], s[0:1]
	s_cbranch_execz .LBB9_34
; %bb.30:
	s_memrealtime s[10:11]
	s_mov_b64 s[4:5], exec
	s_lshl_b64 s[0:1], s[2:3], 3
	v_mbcnt_lo_u32_b32 v0, s4, 0
	s_add_u32 s0, s6, s0
	v_mbcnt_hi_u32_b32 v0, s5, v0
	s_addc_u32 s1, s7, s1
	v_cmp_eq_u32_e32 vcc, 0, v0
	s_and_saveexec_b64 s[2:3], vcc
	s_cbranch_execz .LBB9_32
; %bb.31:
	s_waitcnt lgkmcnt(0)
	s_sub_u32 s6, s10, s8
	s_subb_u32 s7, s11, s9
	s_bcnt1_i32_b64 s4, s[4:5]
	s_mul_i32 s7, s7, s4
	s_mul_hi_u32 s5, s6, s4
	s_add_i32 s5, s5, s7
	s_mul_i32 s6, s6, s4
	v_mov_b32_e32 v0, s6
	v_mov_b32_e32 v1, s5
	;; [unrolled: 1-line block ×3, first 2 shown]
	buffer_wbl2 sc0 sc1
	s_waitcnt vmcnt(0)
	global_atomic_add_x2 v2, v[0:1], s[0:1] sc1
	s_waitcnt vmcnt(0)
	buffer_inv sc0 sc1
.LBB9_32:
	s_or_b64 exec, exec, s[2:3]
	s_mov_b64 s[2:3], exec
	v_mbcnt_lo_u32_b32 v0, s2, 0
	v_mbcnt_hi_u32_b32 v0, s3, v0
	v_cmp_eq_u32_e32 vcc, 0, v0
	s_and_b64 s[4:5], exec, vcc
	s_mov_b64 exec, s[4:5]
	s_cbranch_execz .LBB9_34
; %bb.33:
	s_bcnt1_i32_b64 s2, s[2:3]
	s_mul_hi_i32 s3, s18, s2
	s_mul_i32 s2, s18, s2
	s_lshl_b64 s[2:3], s[2:3], 2
	v_mov_b32_e32 v0, 0
	v_mov_b64_e32 v[2:3], s[2:3]
	buffer_wbl2 sc0 sc1
	s_waitcnt vmcnt(0) lgkmcnt(0)
	global_atomic_add_x2 v0, v[2:3], s[0:1] offset:448 sc1
	s_waitcnt vmcnt(0)
	buffer_inv sc0 sc1
.LBB9_34:
	s_endpgm
	.section	.rodata,"a",@progbits
	.p2align	6, 0x0
	.amdhsa_kernel _Z16flag_sync_kernelILi4ELi0EEvP15transfer_data_tP16profiling_data_tm
		.amdhsa_group_segment_fixed_size 0
		.amdhsa_private_segment_fixed_size 0
		.amdhsa_kernarg_size 24
		.amdhsa_user_sgpr_count 2
		.amdhsa_user_sgpr_dispatch_ptr 0
		.amdhsa_user_sgpr_queue_ptr 0
		.amdhsa_user_sgpr_kernarg_segment_ptr 1
		.amdhsa_user_sgpr_dispatch_id 0
		.amdhsa_user_sgpr_kernarg_preload_length 0
		.amdhsa_user_sgpr_kernarg_preload_offset 0
		.amdhsa_user_sgpr_private_segment_size 0
		.amdhsa_uses_dynamic_stack 0
		.amdhsa_enable_private_segment 0
		.amdhsa_system_sgpr_workgroup_id_x 1
		.amdhsa_system_sgpr_workgroup_id_y 0
		.amdhsa_system_sgpr_workgroup_id_z 0
		.amdhsa_system_sgpr_workgroup_info 0
		.amdhsa_system_vgpr_workitem_id 0
		.amdhsa_next_free_vgpr 48
		.amdhsa_next_free_sgpr 21
		.amdhsa_accum_offset 48
		.amdhsa_reserve_vcc 1
		.amdhsa_float_round_mode_32 0
		.amdhsa_float_round_mode_16_64 0
		.amdhsa_float_denorm_mode_32 3
		.amdhsa_float_denorm_mode_16_64 3
		.amdhsa_dx10_clamp 1
		.amdhsa_ieee_mode 1
		.amdhsa_fp16_overflow 0
		.amdhsa_tg_split 0
		.amdhsa_exception_fp_ieee_invalid_op 0
		.amdhsa_exception_fp_denorm_src 0
		.amdhsa_exception_fp_ieee_div_zero 0
		.amdhsa_exception_fp_ieee_overflow 0
		.amdhsa_exception_fp_ieee_underflow 0
		.amdhsa_exception_fp_ieee_inexact 0
		.amdhsa_exception_int_div_zero 0
	.end_amdhsa_kernel
	.section	.text._Z16flag_sync_kernelILi4ELi0EEvP15transfer_data_tP16profiling_data_tm,"axG",@progbits,_Z16flag_sync_kernelILi4ELi0EEvP15transfer_data_tP16profiling_data_tm,comdat
.Lfunc_end9:
	.size	_Z16flag_sync_kernelILi4ELi0EEvP15transfer_data_tP16profiling_data_tm, .Lfunc_end9-_Z16flag_sync_kernelILi4ELi0EEvP15transfer_data_tP16profiling_data_tm
                                        ; -- End function
	.set _Z16flag_sync_kernelILi4ELi0EEvP15transfer_data_tP16profiling_data_tm.num_vgpr, 48
	.set _Z16flag_sync_kernelILi4ELi0EEvP15transfer_data_tP16profiling_data_tm.num_agpr, 0
	.set _Z16flag_sync_kernelILi4ELi0EEvP15transfer_data_tP16profiling_data_tm.numbered_sgpr, 21
	.set _Z16flag_sync_kernelILi4ELi0EEvP15transfer_data_tP16profiling_data_tm.num_named_barrier, 0
	.set _Z16flag_sync_kernelILi4ELi0EEvP15transfer_data_tP16profiling_data_tm.private_seg_size, 0
	.set _Z16flag_sync_kernelILi4ELi0EEvP15transfer_data_tP16profiling_data_tm.uses_vcc, 1
	.set _Z16flag_sync_kernelILi4ELi0EEvP15transfer_data_tP16profiling_data_tm.uses_flat_scratch, 0
	.set _Z16flag_sync_kernelILi4ELi0EEvP15transfer_data_tP16profiling_data_tm.has_dyn_sized_stack, 0
	.set _Z16flag_sync_kernelILi4ELi0EEvP15transfer_data_tP16profiling_data_tm.has_recursion, 0
	.set _Z16flag_sync_kernelILi4ELi0EEvP15transfer_data_tP16profiling_data_tm.has_indirect_call, 0
	.section	.AMDGPU.csdata,"",@progbits
; Kernel info:
; codeLenInByte = 1532
; TotalNumSgprs: 27
; NumVgprs: 48
; NumAgprs: 0
; TotalNumVgprs: 48
; ScratchSize: 0
; MemoryBound: 0
; FloatMode: 240
; IeeeMode: 1
; LDSByteSize: 0 bytes/workgroup (compile time only)
; SGPRBlocks: 3
; VGPRBlocks: 5
; NumSGPRsForWavesPerEU: 27
; NumVGPRsForWavesPerEU: 48
; AccumOffset: 48
; Occupancy: 8
; WaveLimiterHint : 1
; COMPUTE_PGM_RSRC2:SCRATCH_EN: 0
; COMPUTE_PGM_RSRC2:USER_SGPR: 2
; COMPUTE_PGM_RSRC2:TRAP_HANDLER: 0
; COMPUTE_PGM_RSRC2:TGID_X_EN: 1
; COMPUTE_PGM_RSRC2:TGID_Y_EN: 0
; COMPUTE_PGM_RSRC2:TGID_Z_EN: 0
; COMPUTE_PGM_RSRC2:TIDIG_COMP_CNT: 0
; COMPUTE_PGM_RSRC3_GFX90A:ACCUM_OFFSET: 11
; COMPUTE_PGM_RSRC3_GFX90A:TG_SPLIT: 0
	.section	.text._Z16flag_sync_kernelILi4ELi1EEvP15transfer_data_tP16profiling_data_tm,"axG",@progbits,_Z16flag_sync_kernelILi4ELi1EEvP15transfer_data_tP16profiling_data_tm,comdat
	.protected	_Z16flag_sync_kernelILi4ELi1EEvP15transfer_data_tP16profiling_data_tm ; -- Begin function _Z16flag_sync_kernelILi4ELi1EEvP15transfer_data_tP16profiling_data_tm
	.globl	_Z16flag_sync_kernelILi4ELi1EEvP15transfer_data_tP16profiling_data_tm
	.p2align	8
	.type	_Z16flag_sync_kernelILi4ELi1EEvP15transfer_data_tP16profiling_data_tm,@function
_Z16flag_sync_kernelILi4ELi1EEvP15transfer_data_tP16profiling_data_tm: ; @_Z16flag_sync_kernelILi4ELi1EEvP15transfer_data_tP16profiling_data_tm
; %bb.0:
	s_load_dwordx4 s[4:7], s[0:1], 0x0
	s_load_dwordx2 s[8:9], s[0:1], 0x10
	v_cmp_eq_u32_e64 s[0:1], 0, v0
	s_waitcnt lgkmcnt(0)
	s_load_dword s18, s[4:5], 0x8c0
	s_and_saveexec_b64 s[10:11], s[0:1]
	s_cbranch_execz .LBB10_10
; %bb.1:
	s_load_dword s12, s[4:5], 0x8c4
	s_load_dwordx2 s[16:17], s[4:5], 0x8d0
	s_mov_b64 s[14:15], src_private_base
	s_waitcnt lgkmcnt(0)
	s_ashr_i32 s13, s12, 31
	s_lshl_b64 s[12:13], s[12:13], 3
	s_add_u32 s12, s16, s12
	s_addc_u32 s13, s17, s13
	s_cmp_eq_u32 s13, s15
	s_cselect_b64 s[14:15], -1, 0
	s_andn2_b64 vcc, exec, s[14:15]
	s_mov_b64 s[14:15], -1
	s_cbranch_vccz .LBB10_3
; %bb.2:
	v_mov_b64_e32 v[2:3], 1
	v_mov_b64_e32 v[4:5], s[12:13]
	buffer_wbl2 sc0 sc1
	flat_atomic_add_x2 v[4:5], v[2:3] sc1
	s_waitcnt vmcnt(0) lgkmcnt(0)
	buffer_inv sc0 sc1
	s_mov_b64 s[14:15], 0
.LBB10_3:
	s_andn2_b64 vcc, exec, s[14:15]
	s_cbranch_vccnz .LBB10_5
; %bb.4:
	s_cmp_lg_u64 s[12:13], 0
	s_cselect_b32 s3, s12, -1
	scratch_load_dwordx2 v[2:3], off, s3
	s_waitcnt vmcnt(0)
	v_lshl_add_u64 v[2:3], v[2:3], 0, 1
	scratch_store_dwordx2 off, v[2:3], s3
.LBB10_5:
	v_mov_b32_e32 v1, 0
	global_load_dword v2, v1, s[4:5] offset:2248
	s_waitcnt vmcnt(0)
	v_cmp_gt_i32_e32 vcc, 1, v2
	s_cbranch_vccnz .LBB10_10
; %bb.6:
	s_mov_b32 s13, 0
	s_mov_b32 s12, s13
.LBB10_7:                               ; =>This Loop Header: Depth=1
                                        ;     Child Loop BB10_8 Depth 2
	s_mov_b64 s[14:15], 0
	s_lshl_b64 s[16:17], s[12:13], 3
.LBB10_8:                               ;   Parent Loop BB10_7 Depth=1
                                        ; =>  This Inner Loop Header: Depth=2
	global_load_dwordx2 v[2:3], v1, s[4:5] offset:2256
	s_waitcnt vmcnt(0)
	v_lshl_add_u64 v[2:3], v[2:3], 0, s[16:17]
	flat_load_dwordx2 v[2:3], v[2:3] sc0 sc1
	s_waitcnt vmcnt(0) lgkmcnt(0)
	buffer_inv sc0 sc1
	v_cmp_le_u64_e32 vcc, s[8:9], v[2:3]
	s_or_b64 s[14:15], vcc, s[14:15]
	s_andn2_b64 exec, exec, s[14:15]
	s_cbranch_execnz .LBB10_8
; %bb.9:                                ;   in Loop: Header=BB10_7 Depth=1
	s_or_b64 exec, exec, s[14:15]
	global_load_dword v2, v1, s[4:5] offset:2248
	s_add_i32 s12, s12, 1
	s_waitcnt vmcnt(0)
	v_cmp_lt_i32_e32 vcc, s12, v2
	s_cbranch_vccnz .LBB10_7
.LBB10_10:
	s_or_b64 exec, exec, s[10:11]
	s_waitcnt lgkmcnt(0)
	s_barrier
                                        ; implicit-def: $sgpr8_sgpr9
	s_and_saveexec_b64 s[10:11], s[0:1]
; %bb.11:
	s_memrealtime s[8:9]
; %bb.12:
	s_or_b64 exec, exec, s[10:11]
	s_ashr_i32 s3, s2, 31
	s_cmp_lt_i32 s18, 1
	s_cbranch_scc1 .LBB10_34
; %bb.13:
	s_lshl_b64 s[10:11], s[2:3], 3
	s_add_u32 s4, s4, s10
	s_addc_u32 s5, s5, s11
	v_mov_b32_e32 v1, 0
	global_load_dwordx2 v[6:7], v1, s[4:5] offset:448
	global_load_dwordx2 v[4:5], v1, s[4:5] offset:1792
	global_load_dwordx2 v[2:3], v1, s[4:5]
	v_lshrrev_b32_e32 v1, 6, v0
	v_and_b32_e32 v9, 63, v0
	s_mov_b32 s10, 0
	s_waitcnt vmcnt(1)
	v_or_b32_e32 v8, v4, v6
	s_waitcnt vmcnt(0)
	v_or_b32_e32 v8, v8, v2
	v_and_b32_e32 v8, 3, v8
	v_cmp_eq_u32_e32 vcc, 0, v8
	v_lshl_or_b32 v8, v1, 8, v9
	s_cbranch_vccnz .LBB10_24
; %bb.14:
	v_lshl_or_b32 v1, v1, 8, v9
	s_mov_b64 s[4:5], -1
	s_cbranch_execnz .LBB10_25
.LBB10_15:
	s_lshr_b32 s10, s18, 2
	s_and_b32 s16, s10, 0x1fffff00
	v_cmp_gt_u32_e32 vcc, s16, v8
	s_and_saveexec_b64 s[10:11], vcc
	s_cbranch_execz .LBB10_18
; %bb.16:
	v_lshlrev_b32_e32 v14, 4, v8
	v_mov_b32_e32 v15, 0
	v_lshl_add_u64 v[10:11], v[4:5], 0, v[14:15]
	v_lshl_add_u64 v[12:13], v[6:7], 0, v[14:15]
	;; [unrolled: 1-line block ×3, first 2 shown]
	s_mov_b64 s[12:13], 0
	s_mov_b64 s[14:15], 0x4000
	v_mov_b32_e32 v1, v8
.LBB10_17:                              ; =>This Inner Loop Header: Depth=1
	flat_load_dwordx4 v[16:19], v[10:11] nt
	flat_load_dwordx4 v[20:23], v[12:13] nt
	flat_load_dwordx4 v[24:27], v[12:13] offset:1024 nt
	flat_load_dwordx4 v[28:31], v[10:11] offset:1024 nt
	;; [unrolled: 1-line block ×6, first 2 shown]
	v_add_u32_e32 v1, 0x400, v1
	v_cmp_le_u32_e32 vcc, s16, v1
	v_lshl_add_u64 v[12:13], v[12:13], 0, s[14:15]
	v_lshl_add_u64 v[10:11], v[10:11], 0, s[14:15]
	s_or_b64 s[12:13], vcc, s[12:13]
	s_waitcnt vmcnt(0) lgkmcnt(0)
	v_add_f32_e32 v16, v20, v16
	v_add_f32_e32 v17, v21, v17
	;; [unrolled: 1-line block ×16, first 2 shown]
	flat_store_dwordx4 v[14:15], v[16:19] nt
	flat_store_dwordx4 v[14:15], v[20:23] offset:1024 nt
	flat_store_dwordx4 v[14:15], v[24:27] offset:2048 nt
	;; [unrolled: 1-line block ×3, first 2 shown]
	v_lshl_add_u64 v[14:15], v[14:15], 0, s[14:15]
	s_andn2_b64 exec, exec, s[12:13]
	s_cbranch_execnz .LBB10_17
.LBB10_18:
	s_or_b64 exec, exec, s[10:11]
	s_lshl_b32 s10, s16, 2
	s_cmp_eq_u32 s18, s10
	s_cbranch_scc1 .LBB10_26
; %bb.19:
	s_sub_i32 s19, s18, s10
	s_ashr_i32 s20, s19, 2
	v_cmp_gt_i32_e32 vcc, s20, v0
	s_and_saveexec_b64 s[12:13], vcc
	s_cbranch_execz .LBB10_22
; %bb.20:
	s_mov_b32 s11, 0
	s_lshl_b64 s[14:15], s[10:11], 2
	v_lshl_add_u64 v[10:11], v[2:3], 0, s[14:15]
	v_lshlrev_b32_e32 v14, 4, v0
	v_mov_b32_e32 v15, 0
	v_lshl_add_u64 v[12:13], v[6:7], 0, s[14:15]
	v_lshl_add_u64 v[16:17], v[4:5], 0, s[14:15]
	;; [unrolled: 1-line block ×5, first 2 shown]
	s_mov_b64 s[14:15], 0
	s_mov_b64 s[16:17], 0x1000
	v_mov_b32_e32 v1, v0
.LBB10_21:                              ; =>This Inner Loop Header: Depth=1
	flat_load_dwordx4 v[16:19], v[12:13] nt
	flat_load_dwordx4 v[20:23], v[14:15] nt
	v_add_u32_e32 v1, 0x100, v1
	v_cmp_le_i32_e32 vcc, s20, v1
	v_lshl_add_u64 v[12:13], v[12:13], 0, s[16:17]
	v_lshl_add_u64 v[14:15], v[14:15], 0, s[16:17]
	s_or_b64 s[14:15], vcc, s[14:15]
	s_waitcnt vmcnt(0) lgkmcnt(0)
	v_add_f32_e32 v16, v16, v20
	v_add_f32_e32 v17, v17, v21
	;; [unrolled: 1-line block ×4, first 2 shown]
	flat_store_dwordx4 v[10:11], v[16:19]
	v_lshl_add_u64 v[10:11], v[10:11], 0, s[16:17]
	s_andn2_b64 exec, exec, s[14:15]
	s_cbranch_execnz .LBB10_21
.LBB10_22:
	s_or_b64 exec, exec, s[12:13]
	s_and_b32 s16, s18, 3
	s_cmp_eq_u32 s16, 0
	s_cbranch_scc1 .LBB10_27
; %bb.23:
	s_and_b32 s4, s19, -4
	s_add_i32 s10, s4, s10
	s_cbranch_execnz .LBB10_28
	s_branch .LBB10_34
.LBB10_24:
	s_mov_b64 s[4:5], 0
                                        ; implicit-def: $vgpr1
	s_branch .LBB10_15
.LBB10_25:
	s_mov_b32 s16, s18
	v_mov_b32_e32 v8, v1
	s_and_b64 vcc, exec, s[4:5]
	s_cbranch_vccnz .LBB10_28
	s_branch .LBB10_34
.LBB10_26:
                                        ; implicit-def: $sgpr16
.LBB10_27:
                                        ; implicit-def: $sgpr10
	s_and_b64 vcc, exec, s[4:5]
	s_cbranch_vccz .LBB10_34
.LBB10_28:
	s_and_b32 s17, s16, 0x7fffff00
	v_cmp_gt_u32_e32 vcc, s17, v8
	s_and_saveexec_b64 s[4:5], vcc
	s_cbranch_execz .LBB10_31
; %bb.29:
	s_ashr_i32 s11, s10, 31
	s_lshl_b64 s[12:13], s[10:11], 2
	v_mov_b32_e32 v9, 0
	v_lshl_add_u64 v[10:11], v[2:3], 0, s[12:13]
	v_lshlrev_b64 v[14:15], 2, v[8:9]
	v_lshl_add_u64 v[12:13], v[6:7], 0, s[12:13]
	v_lshl_add_u64 v[16:17], v[4:5], 0, s[12:13]
	;; [unrolled: 1-line block ×5, first 2 shown]
	s_mov_b64 s[12:13], 0
	s_mov_b64 s[14:15], 0x1000
.LBB10_30:                              ; =>This Inner Loop Header: Depth=1
	flat_load_dword v1, v[12:13] nt
	flat_load_dword v9, v[12:13] offset:256 nt
	flat_load_dword v16, v[12:13] offset:512 nt
	;; [unrolled: 1-line block ×3, first 2 shown]
	flat_load_dword v18, v[14:15] nt
	flat_load_dword v19, v[14:15] offset:256 nt
	flat_load_dword v20, v[14:15] offset:512 nt
	;; [unrolled: 1-line block ×3, first 2 shown]
	v_add_u32_e32 v8, 0x400, v8
	v_cmp_le_u32_e32 vcc, s17, v8
	v_lshl_add_u64 v[12:13], v[12:13], 0, s[14:15]
	v_lshl_add_u64 v[14:15], v[14:15], 0, s[14:15]
	s_or_b64 s[12:13], vcc, s[12:13]
	s_waitcnt vmcnt(0) lgkmcnt(0)
	v_add_f32_e32 v1, v1, v18
	v_add_f32_e32 v9, v9, v19
	;; [unrolled: 1-line block ×4, first 2 shown]
	flat_store_dword v[10:11], v1 nt
	flat_store_dword v[10:11], v9 offset:256 nt
	flat_store_dword v[10:11], v16 offset:512 nt
	;; [unrolled: 1-line block ×3, first 2 shown]
	v_lshl_add_u64 v[10:11], v[10:11], 0, s[14:15]
	s_andn2_b64 exec, exec, s[12:13]
	s_cbranch_execnz .LBB10_30
.LBB10_31:
	s_or_b64 exec, exec, s[4:5]
	s_and_b32 s11, s16, 0xff
	s_cmp_lg_u32 s11, 0
	s_cselect_b64 s[4:5], -1, 0
	v_cmp_gt_u32_e32 vcc, s11, v0
	s_and_b64 s[12:13], s[4:5], vcc
	s_and_saveexec_b64 s[4:5], s[12:13]
	s_cbranch_execz .LBB10_33
; %bb.32:
	s_add_i32 s10, s17, s10
	s_ashr_i32 s11, s10, 31
	s_lshl_b64 s[10:11], s[10:11], 2
	v_lshlrev_b32_e32 v0, 2, v0
	v_mov_b32_e32 v1, 0
	v_lshl_add_u64 v[6:7], v[6:7], 0, s[10:11]
	v_lshl_add_u64 v[6:7], v[6:7], 0, v[0:1]
	;; [unrolled: 1-line block ×4, first 2 shown]
	flat_load_dword v8, v[6:7] nt
	flat_load_dword v9, v[4:5] nt
	v_lshl_add_u64 v[2:3], v[2:3], 0, s[10:11]
	v_lshl_add_u64 v[0:1], v[2:3], 0, v[0:1]
	s_waitcnt vmcnt(0) lgkmcnt(0)
	v_add_f32_e32 v2, v8, v9
	flat_store_dword v[0:1], v2 nt
.LBB10_33:
	s_or_b64 exec, exec, s[4:5]
.LBB10_34:
	s_waitcnt lgkmcnt(0)
	s_barrier
	s_and_saveexec_b64 s[4:5], s[0:1]
	s_cbranch_execz .LBB10_39
; %bb.35:
	s_memrealtime s[10:11]
	s_mov_b64 s[4:5], exec
	s_lshl_b64 s[0:1], s[2:3], 3
	v_mbcnt_lo_u32_b32 v0, s4, 0
	s_add_u32 s0, s6, s0
	v_mbcnt_hi_u32_b32 v0, s5, v0
	s_addc_u32 s1, s7, s1
	v_cmp_eq_u32_e32 vcc, 0, v0
	s_and_saveexec_b64 s[2:3], vcc
	s_cbranch_execz .LBB10_37
; %bb.36:
	s_waitcnt lgkmcnt(0)
	s_sub_u32 s6, s10, s8
	s_subb_u32 s7, s11, s9
	s_bcnt1_i32_b64 s4, s[4:5]
	s_mul_i32 s7, s7, s4
	s_mul_hi_u32 s5, s6, s4
	s_add_i32 s5, s5, s7
	s_mul_i32 s6, s6, s4
	v_mov_b32_e32 v0, s6
	v_mov_b32_e32 v1, s5
	;; [unrolled: 1-line block ×3, first 2 shown]
	buffer_wbl2 sc0 sc1
	s_waitcnt vmcnt(0)
	global_atomic_add_x2 v2, v[0:1], s[0:1] sc1
	s_waitcnt vmcnt(0)
	buffer_inv sc0 sc1
.LBB10_37:
	s_or_b64 exec, exec, s[2:3]
	s_mov_b64 s[2:3], exec
	v_mbcnt_lo_u32_b32 v0, s2, 0
	v_mbcnt_hi_u32_b32 v0, s3, v0
	v_cmp_eq_u32_e32 vcc, 0, v0
	s_and_b64 s[4:5], exec, vcc
	s_mov_b64 exec, s[4:5]
	s_cbranch_execz .LBB10_39
; %bb.38:
	s_bcnt1_i32_b64 s2, s[2:3]
	s_mul_hi_i32 s3, s18, s2
	s_mul_i32 s2, s18, s2
	s_lshl_b64 s[2:3], s[2:3], 2
	v_mov_b32_e32 v0, 0
	v_mov_b64_e32 v[2:3], s[2:3]
	buffer_wbl2 sc0 sc1
	s_waitcnt vmcnt(0) lgkmcnt(0)
	global_atomic_add_x2 v0, v[2:3], s[0:1] offset:448 sc1
	s_waitcnt vmcnt(0)
	buffer_inv sc0 sc1
.LBB10_39:
	s_endpgm
	.section	.rodata,"a",@progbits
	.p2align	6, 0x0
	.amdhsa_kernel _Z16flag_sync_kernelILi4ELi1EEvP15transfer_data_tP16profiling_data_tm
		.amdhsa_group_segment_fixed_size 0
		.amdhsa_private_segment_fixed_size 0
		.amdhsa_kernarg_size 24
		.amdhsa_user_sgpr_count 2
		.amdhsa_user_sgpr_dispatch_ptr 0
		.amdhsa_user_sgpr_queue_ptr 0
		.amdhsa_user_sgpr_kernarg_segment_ptr 1
		.amdhsa_user_sgpr_dispatch_id 0
		.amdhsa_user_sgpr_kernarg_preload_length 0
		.amdhsa_user_sgpr_kernarg_preload_offset 0
		.amdhsa_user_sgpr_private_segment_size 0
		.amdhsa_uses_dynamic_stack 0
		.amdhsa_enable_private_segment 0
		.amdhsa_system_sgpr_workgroup_id_x 1
		.amdhsa_system_sgpr_workgroup_id_y 0
		.amdhsa_system_sgpr_workgroup_id_z 0
		.amdhsa_system_sgpr_workgroup_info 0
		.amdhsa_system_vgpr_workitem_id 0
		.amdhsa_next_free_vgpr 48
		.amdhsa_next_free_sgpr 21
		.amdhsa_accum_offset 48
		.amdhsa_reserve_vcc 1
		.amdhsa_float_round_mode_32 0
		.amdhsa_float_round_mode_16_64 0
		.amdhsa_float_denorm_mode_32 3
		.amdhsa_float_denorm_mode_16_64 3
		.amdhsa_dx10_clamp 1
		.amdhsa_ieee_mode 1
		.amdhsa_fp16_overflow 0
		.amdhsa_tg_split 0
		.amdhsa_exception_fp_ieee_invalid_op 0
		.amdhsa_exception_fp_denorm_src 0
		.amdhsa_exception_fp_ieee_div_zero 0
		.amdhsa_exception_fp_ieee_overflow 0
		.amdhsa_exception_fp_ieee_underflow 0
		.amdhsa_exception_fp_ieee_inexact 0
		.amdhsa_exception_int_div_zero 0
	.end_amdhsa_kernel
	.section	.text._Z16flag_sync_kernelILi4ELi1EEvP15transfer_data_tP16profiling_data_tm,"axG",@progbits,_Z16flag_sync_kernelILi4ELi1EEvP15transfer_data_tP16profiling_data_tm,comdat
.Lfunc_end10:
	.size	_Z16flag_sync_kernelILi4ELi1EEvP15transfer_data_tP16profiling_data_tm, .Lfunc_end10-_Z16flag_sync_kernelILi4ELi1EEvP15transfer_data_tP16profiling_data_tm
                                        ; -- End function
	.set _Z16flag_sync_kernelILi4ELi1EEvP15transfer_data_tP16profiling_data_tm.num_vgpr, 48
	.set _Z16flag_sync_kernelILi4ELi1EEvP15transfer_data_tP16profiling_data_tm.num_agpr, 0
	.set _Z16flag_sync_kernelILi4ELi1EEvP15transfer_data_tP16profiling_data_tm.numbered_sgpr, 21
	.set _Z16flag_sync_kernelILi4ELi1EEvP15transfer_data_tP16profiling_data_tm.num_named_barrier, 0
	.set _Z16flag_sync_kernelILi4ELi1EEvP15transfer_data_tP16profiling_data_tm.private_seg_size, 0
	.set _Z16flag_sync_kernelILi4ELi1EEvP15transfer_data_tP16profiling_data_tm.uses_vcc, 1
	.set _Z16flag_sync_kernelILi4ELi1EEvP15transfer_data_tP16profiling_data_tm.uses_flat_scratch, 0
	.set _Z16flag_sync_kernelILi4ELi1EEvP15transfer_data_tP16profiling_data_tm.has_dyn_sized_stack, 0
	.set _Z16flag_sync_kernelILi4ELi1EEvP15transfer_data_tP16profiling_data_tm.has_recursion, 0
	.set _Z16flag_sync_kernelILi4ELi1EEvP15transfer_data_tP16profiling_data_tm.has_indirect_call, 0
	.section	.AMDGPU.csdata,"",@progbits
; Kernel info:
; codeLenInByte = 1664
; TotalNumSgprs: 27
; NumVgprs: 48
; NumAgprs: 0
; TotalNumVgprs: 48
; ScratchSize: 0
; MemoryBound: 0
; FloatMode: 240
; IeeeMode: 1
; LDSByteSize: 0 bytes/workgroup (compile time only)
; SGPRBlocks: 3
; VGPRBlocks: 5
; NumSGPRsForWavesPerEU: 27
; NumVGPRsForWavesPerEU: 48
; AccumOffset: 48
; Occupancy: 8
; WaveLimiterHint : 1
; COMPUTE_PGM_RSRC2:SCRATCH_EN: 0
; COMPUTE_PGM_RSRC2:USER_SGPR: 2
; COMPUTE_PGM_RSRC2:TRAP_HANDLER: 0
; COMPUTE_PGM_RSRC2:TGID_X_EN: 1
; COMPUTE_PGM_RSRC2:TGID_Y_EN: 0
; COMPUTE_PGM_RSRC2:TGID_Z_EN: 0
; COMPUTE_PGM_RSRC2:TIDIG_COMP_CNT: 0
; COMPUTE_PGM_RSRC3_GFX90A:ACCUM_OFFSET: 11
; COMPUTE_PGM_RSRC3_GFX90A:TG_SPLIT: 0
	.section	.text._Z16flag_sync_kernelILi5ELi0EEvP15transfer_data_tP16profiling_data_tm,"axG",@progbits,_Z16flag_sync_kernelILi5ELi0EEvP15transfer_data_tP16profiling_data_tm,comdat
	.protected	_Z16flag_sync_kernelILi5ELi0EEvP15transfer_data_tP16profiling_data_tm ; -- Begin function _Z16flag_sync_kernelILi5ELi0EEvP15transfer_data_tP16profiling_data_tm
	.globl	_Z16flag_sync_kernelILi5ELi0EEvP15transfer_data_tP16profiling_data_tm
	.p2align	8
	.type	_Z16flag_sync_kernelILi5ELi0EEvP15transfer_data_tP16profiling_data_tm,@function
_Z16flag_sync_kernelILi5ELi0EEvP15transfer_data_tP16profiling_data_tm: ; @_Z16flag_sync_kernelILi5ELi0EEvP15transfer_data_tP16profiling_data_tm
; %bb.0:
	s_load_dwordx4 s[4:7], s[0:1], 0x0
	v_cmp_eq_u32_e64 s[0:1], 0, v0
	s_waitcnt lgkmcnt(0)
	s_load_dword s18, s[4:5], 0x8c0
	s_and_saveexec_b64 s[8:9], s[0:1]
	s_cbranch_execz .LBB11_5
; %bb.1:
	s_load_dword s10, s[4:5], 0x8c4
	s_load_dwordx2 s[14:15], s[4:5], 0x8d0
	s_mov_b64 s[12:13], src_private_base
	s_waitcnt lgkmcnt(0)
	s_ashr_i32 s11, s10, 31
	s_lshl_b64 s[10:11], s[10:11], 3
	s_add_u32 s10, s14, s10
	s_addc_u32 s11, s15, s11
	s_cmp_eq_u32 s11, s13
	s_cselect_b64 s[12:13], -1, 0
	s_andn2_b64 vcc, exec, s[12:13]
	s_mov_b64 s[12:13], -1
	s_cbranch_vccz .LBB11_3
; %bb.2:
	v_mov_b64_e32 v[2:3], 1
	v_mov_b64_e32 v[4:5], s[10:11]
	buffer_wbl2 sc0 sc1
	flat_atomic_add_x2 v[4:5], v[2:3] sc1
	s_waitcnt vmcnt(0) lgkmcnt(0)
	buffer_inv sc0 sc1
	s_mov_b64 s[12:13], 0
.LBB11_3:
	s_andn2_b64 vcc, exec, s[12:13]
	s_cbranch_vccnz .LBB11_5
; %bb.4:
	s_cmp_lg_u64 s[10:11], 0
	s_cselect_b32 s3, s10, -1
	scratch_load_dwordx2 v[2:3], off, s3
	s_waitcnt vmcnt(0)
	v_lshl_add_u64 v[2:3], v[2:3], 0, 1
	scratch_store_dwordx2 off, v[2:3], s3
.LBB11_5:
	s_or_b64 exec, exec, s[8:9]
	s_waitcnt lgkmcnt(0)
	s_barrier
                                        ; implicit-def: $sgpr8_sgpr9
	s_and_saveexec_b64 s[10:11], s[0:1]
; %bb.6:
	s_memrealtime s[8:9]
; %bb.7:
	s_or_b64 exec, exec, s[10:11]
	s_ashr_i32 s3, s2, 31
	s_cmp_lt_i32 s18, 1
	s_cbranch_scc1 .LBB11_29
; %bb.8:
	s_lshl_b64 s[10:11], s[2:3], 3
	s_add_u32 s4, s4, s10
	s_addc_u32 s5, s5, s11
	v_mov_b32_e32 v1, 0
	global_load_dwordx2 v[8:9], v1, s[4:5] offset:448
	global_load_dwordx2 v[6:7], v1, s[4:5] offset:1792
	;; [unrolled: 1-line block ×3, first 2 shown]
	global_load_dwordx2 v[4:5], v1, s[4:5]
	v_lshrrev_b32_e32 v1, 6, v0
	v_and_b32_e32 v11, 63, v0
	s_mov_b32 s10, 0
	s_waitcnt vmcnt(2)
	v_or_b32_e32 v10, v6, v8
	s_waitcnt vmcnt(0)
	v_or_b32_e32 v10, v10, v4
	v_or_b32_e32 v10, v10, v2
	v_and_b32_e32 v10, 3, v10
	v_cmp_eq_u32_e32 vcc, 0, v10
	v_lshl_or_b32 v10, v1, 8, v11
	s_cbranch_vccnz .LBB11_19
; %bb.9:
	v_lshl_or_b32 v1, v1, 8, v11
	s_mov_b64 s[4:5], -1
	s_cbranch_execnz .LBB11_20
.LBB11_10:
	s_lshr_b32 s10, s18, 2
	s_and_b32 s16, s10, 0x1fffff00
	v_cmp_gt_u32_e32 vcc, s16, v10
	s_and_saveexec_b64 s[10:11], vcc
	s_cbranch_execz .LBB11_13
; %bb.11:
	v_lshlrev_b32_e32 v18, 4, v10
	v_mov_b32_e32 v19, 0
	v_lshl_add_u64 v[12:13], v[2:3], 0, v[18:19]
	v_lshl_add_u64 v[14:15], v[4:5], 0, v[18:19]
	;; [unrolled: 1-line block ×4, first 2 shown]
	s_mov_b64 s[12:13], 0
	s_mov_b64 s[14:15], 0x4000
	v_mov_b32_e32 v1, v10
.LBB11_12:                              ; =>This Inner Loop Header: Depth=1
	flat_load_dwordx4 v[20:23], v[16:17] nt
	flat_load_dwordx4 v[24:27], v[18:19] nt
	flat_load_dwordx4 v[28:31], v[18:19] offset:1024 nt
	flat_load_dwordx4 v[32:35], v[16:17] offset:1024 nt
	;; [unrolled: 1-line block ×6, first 2 shown]
	v_add_u32_e32 v1, 0x400, v1
	v_cmp_le_u32_e32 vcc, s16, v1
	v_lshl_add_u64 v[18:19], v[18:19], 0, s[14:15]
	v_lshl_add_u64 v[16:17], v[16:17], 0, s[14:15]
	s_or_b64 s[12:13], vcc, s[12:13]
	s_waitcnt vmcnt(0) lgkmcnt(0)
	v_add_f32_e32 v20, v24, v20
	v_add_f32_e32 v21, v25, v21
	;; [unrolled: 1-line block ×16, first 2 shown]
	flat_store_dwordx4 v[14:15], v[20:23] nt
	flat_store_dwordx4 v[14:15], v[24:27] offset:1024 nt
	flat_store_dwordx4 v[14:15], v[28:31] offset:2048 nt
	flat_store_dwordx4 v[14:15], v[32:35] offset:3072 nt
	flat_store_dwordx4 v[12:13], v[20:23] nt
	flat_store_dwordx4 v[12:13], v[24:27] offset:1024 nt
	flat_store_dwordx4 v[12:13], v[28:31] offset:2048 nt
	;; [unrolled: 1-line block ×3, first 2 shown]
	v_lshl_add_u64 v[14:15], v[14:15], 0, s[14:15]
	v_lshl_add_u64 v[12:13], v[12:13], 0, s[14:15]
	s_andn2_b64 exec, exec, s[12:13]
	s_cbranch_execnz .LBB11_12
.LBB11_13:
	s_or_b64 exec, exec, s[10:11]
	s_lshl_b32 s10, s16, 2
	s_cmp_eq_u32 s18, s10
	s_cbranch_scc1 .LBB11_21
; %bb.14:
	s_sub_i32 s19, s18, s10
	s_ashr_i32 s20, s19, 2
	v_cmp_gt_i32_e32 vcc, s20, v0
	s_and_saveexec_b64 s[12:13], vcc
	s_cbranch_execz .LBB11_17
; %bb.15:
	s_mov_b32 s11, 0
	s_lshl_b64 s[14:15], s[10:11], 2
	v_lshl_add_u64 v[12:13], v[8:9], 0, s[14:15]
	v_lshlrev_b32_e32 v18, 4, v0
	v_mov_b32_e32 v19, 0
	v_lshl_add_u64 v[14:15], v[6:7], 0, s[14:15]
	v_lshl_add_u64 v[16:17], v[4:5], 0, s[14:15]
	;; [unrolled: 1-line block ×7, first 2 shown]
	s_mov_b64 s[14:15], 0
	s_mov_b64 s[16:17], 0x1000
	v_mov_b32_e32 v1, v0
.LBB11_16:                              ; =>This Inner Loop Header: Depth=1
	flat_load_dwordx4 v[20:23], v[12:13] nt
	flat_load_dwordx4 v[24:27], v[14:15] nt
	v_add_u32_e32 v1, 0x100, v1
	v_cmp_le_i32_e32 vcc, s20, v1
	v_lshl_add_u64 v[12:13], v[12:13], 0, s[16:17]
	v_lshl_add_u64 v[14:15], v[14:15], 0, s[16:17]
	s_or_b64 s[14:15], vcc, s[14:15]
	s_waitcnt vmcnt(0) lgkmcnt(0)
	v_add_f32_e32 v20, v20, v24
	v_add_f32_e32 v21, v21, v25
	;; [unrolled: 1-line block ×4, first 2 shown]
	flat_store_dwordx4 v[16:17], v[20:23]
	flat_store_dwordx4 v[18:19], v[20:23]
	v_lshl_add_u64 v[16:17], v[16:17], 0, s[16:17]
	v_lshl_add_u64 v[18:19], v[18:19], 0, s[16:17]
	s_andn2_b64 exec, exec, s[14:15]
	s_cbranch_execnz .LBB11_16
.LBB11_17:
	s_or_b64 exec, exec, s[12:13]
	s_and_b32 s16, s18, 3
	s_cmp_eq_u32 s16, 0
	s_cbranch_scc1 .LBB11_22
; %bb.18:
	s_and_b32 s4, s19, -4
	s_add_i32 s10, s4, s10
	s_cbranch_execnz .LBB11_23
	s_branch .LBB11_29
.LBB11_19:
	s_mov_b64 s[4:5], 0
                                        ; implicit-def: $vgpr1
	s_branch .LBB11_10
.LBB11_20:
	s_mov_b32 s16, s18
	v_mov_b32_e32 v10, v1
	s_and_b64 vcc, exec, s[4:5]
	s_cbranch_vccnz .LBB11_23
	s_branch .LBB11_29
.LBB11_21:
                                        ; implicit-def: $sgpr16
.LBB11_22:
                                        ; implicit-def: $sgpr10
	s_and_b64 vcc, exec, s[4:5]
	s_cbranch_vccz .LBB11_29
.LBB11_23:
	s_and_b32 s17, s16, 0x7fffff00
	v_cmp_gt_u32_e32 vcc, s17, v10
	s_and_saveexec_b64 s[4:5], vcc
	s_cbranch_execz .LBB11_26
; %bb.24:
	s_ashr_i32 s11, s10, 31
	s_lshl_b64 s[12:13], s[10:11], 2
	v_mov_b32_e32 v11, 0
	v_lshl_add_u64 v[12:13], v[8:9], 0, s[12:13]
	v_lshlrev_b64 v[18:19], 2, v[10:11]
	v_lshl_add_u64 v[14:15], v[6:7], 0, s[12:13]
	v_lshl_add_u64 v[16:17], v[4:5], 0, s[12:13]
	v_lshl_add_u64 v[20:21], v[2:3], 0, s[12:13]
	v_lshl_add_u64 v[12:13], v[12:13], 0, v[18:19]
	v_lshl_add_u64 v[14:15], v[14:15], 0, v[18:19]
	v_lshl_add_u64 v[16:17], v[16:17], 0, v[18:19]
	v_lshl_add_u64 v[18:19], v[20:21], 0, v[18:19]
	s_mov_b64 s[12:13], 0
	s_mov_b64 s[14:15], 0x1000
.LBB11_25:                              ; =>This Inner Loop Header: Depth=1
	flat_load_dword v1, v[12:13] nt
	flat_load_dword v11, v[12:13] offset:256 nt
	flat_load_dword v20, v[12:13] offset:512 nt
	;; [unrolled: 1-line block ×3, first 2 shown]
	flat_load_dword v22, v[14:15] nt
	flat_load_dword v23, v[14:15] offset:256 nt
	flat_load_dword v24, v[14:15] offset:512 nt
	;; [unrolled: 1-line block ×3, first 2 shown]
	v_add_u32_e32 v10, 0x400, v10
	v_cmp_le_u32_e32 vcc, s17, v10
	v_lshl_add_u64 v[12:13], v[12:13], 0, s[14:15]
	v_lshl_add_u64 v[14:15], v[14:15], 0, s[14:15]
	s_or_b64 s[12:13], vcc, s[12:13]
	s_waitcnt vmcnt(0) lgkmcnt(0)
	v_add_f32_e32 v1, v1, v22
	v_add_f32_e32 v11, v11, v23
	;; [unrolled: 1-line block ×4, first 2 shown]
	flat_store_dword v[16:17], v1 nt
	flat_store_dword v[16:17], v11 offset:256 nt
	flat_store_dword v[16:17], v20 offset:512 nt
	;; [unrolled: 1-line block ×3, first 2 shown]
	flat_store_dword v[18:19], v1 nt
	flat_store_dword v[18:19], v11 offset:256 nt
	flat_store_dword v[18:19], v20 offset:512 nt
	flat_store_dword v[18:19], v21 offset:768 nt
	v_lshl_add_u64 v[16:17], v[16:17], 0, s[14:15]
	v_lshl_add_u64 v[18:19], v[18:19], 0, s[14:15]
	s_andn2_b64 exec, exec, s[12:13]
	s_cbranch_execnz .LBB11_25
.LBB11_26:
	s_or_b64 exec, exec, s[4:5]
	s_and_b32 s11, s16, 0xff
	s_cmp_lg_u32 s11, 0
	s_cselect_b64 s[4:5], -1, 0
	v_cmp_gt_u32_e32 vcc, s11, v0
	s_and_b64 s[12:13], s[4:5], vcc
	s_and_saveexec_b64 s[4:5], s[12:13]
	s_cbranch_execz .LBB11_28
; %bb.27:
	s_add_i32 s10, s17, s10
	s_ashr_i32 s11, s10, 31
	s_lshl_b64 s[10:11], s[10:11], 2
	v_lshl_add_u64 v[8:9], v[8:9], 0, s[10:11]
	v_lshlrev_b32_e32 v0, 2, v0
	v_mov_b32_e32 v1, 0
	v_lshl_add_u64 v[8:9], v[8:9], 0, v[0:1]
	v_lshl_add_u64 v[6:7], v[6:7], 0, s[10:11]
	;; [unrolled: 1-line block ×3, first 2 shown]
	flat_load_dword v10, v[8:9] nt
	flat_load_dword v11, v[6:7] nt
	v_lshl_add_u64 v[4:5], v[4:5], 0, s[10:11]
	v_lshl_add_u64 v[2:3], v[2:3], 0, s[10:11]
	;; [unrolled: 1-line block ×4, first 2 shown]
	s_waitcnt vmcnt(0) lgkmcnt(0)
	v_add_f32_e32 v2, v10, v11
	flat_store_dword v[4:5], v2 nt
	flat_store_dword v[0:1], v2 nt
.LBB11_28:
	s_or_b64 exec, exec, s[4:5]
.LBB11_29:
	s_waitcnt lgkmcnt(0)
	s_barrier
	s_and_saveexec_b64 s[4:5], s[0:1]
	s_cbranch_execz .LBB11_34
; %bb.30:
	s_memrealtime s[10:11]
	s_mov_b64 s[4:5], exec
	s_lshl_b64 s[0:1], s[2:3], 3
	v_mbcnt_lo_u32_b32 v0, s4, 0
	s_add_u32 s0, s6, s0
	v_mbcnt_hi_u32_b32 v0, s5, v0
	s_addc_u32 s1, s7, s1
	v_cmp_eq_u32_e32 vcc, 0, v0
	s_and_saveexec_b64 s[2:3], vcc
	s_cbranch_execz .LBB11_32
; %bb.31:
	s_waitcnt lgkmcnt(0)
	s_sub_u32 s6, s10, s8
	s_subb_u32 s7, s11, s9
	s_bcnt1_i32_b64 s4, s[4:5]
	s_mul_i32 s7, s7, s4
	s_mul_hi_u32 s5, s6, s4
	s_add_i32 s5, s5, s7
	s_mul_i32 s6, s6, s4
	v_mov_b32_e32 v0, s6
	v_mov_b32_e32 v1, s5
	;; [unrolled: 1-line block ×3, first 2 shown]
	buffer_wbl2 sc0 sc1
	s_waitcnt vmcnt(0)
	global_atomic_add_x2 v2, v[0:1], s[0:1] sc1
	s_waitcnt vmcnt(0)
	buffer_inv sc0 sc1
.LBB11_32:
	s_or_b64 exec, exec, s[2:3]
	s_mov_b64 s[2:3], exec
	v_mbcnt_lo_u32_b32 v0, s2, 0
	v_mbcnt_hi_u32_b32 v0, s3, v0
	v_cmp_eq_u32_e32 vcc, 0, v0
	s_and_b64 s[4:5], exec, vcc
	s_mov_b64 exec, s[4:5]
	s_cbranch_execz .LBB11_34
; %bb.33:
	s_bcnt1_i32_b64 s2, s[2:3]
	s_mul_hi_i32 s3, s18, s2
	s_mul_i32 s2, s18, s2
	s_lshl_b64 s[2:3], s[2:3], 2
	v_mov_b32_e32 v0, 0
	v_mov_b64_e32 v[2:3], s[2:3]
	buffer_wbl2 sc0 sc1
	s_waitcnt vmcnt(0) lgkmcnt(0)
	global_atomic_add_x2 v0, v[2:3], s[0:1] offset:448 sc1
	s_waitcnt vmcnt(0)
	buffer_inv sc0 sc1
.LBB11_34:
	s_endpgm
	.section	.rodata,"a",@progbits
	.p2align	6, 0x0
	.amdhsa_kernel _Z16flag_sync_kernelILi5ELi0EEvP15transfer_data_tP16profiling_data_tm
		.amdhsa_group_segment_fixed_size 0
		.amdhsa_private_segment_fixed_size 0
		.amdhsa_kernarg_size 24
		.amdhsa_user_sgpr_count 2
		.amdhsa_user_sgpr_dispatch_ptr 0
		.amdhsa_user_sgpr_queue_ptr 0
		.amdhsa_user_sgpr_kernarg_segment_ptr 1
		.amdhsa_user_sgpr_dispatch_id 0
		.amdhsa_user_sgpr_kernarg_preload_length 0
		.amdhsa_user_sgpr_kernarg_preload_offset 0
		.amdhsa_user_sgpr_private_segment_size 0
		.amdhsa_uses_dynamic_stack 0
		.amdhsa_enable_private_segment 0
		.amdhsa_system_sgpr_workgroup_id_x 1
		.amdhsa_system_sgpr_workgroup_id_y 0
		.amdhsa_system_sgpr_workgroup_id_z 0
		.amdhsa_system_sgpr_workgroup_info 0
		.amdhsa_system_vgpr_workitem_id 0
		.amdhsa_next_free_vgpr 52
		.amdhsa_next_free_sgpr 21
		.amdhsa_accum_offset 52
		.amdhsa_reserve_vcc 1
		.amdhsa_float_round_mode_32 0
		.amdhsa_float_round_mode_16_64 0
		.amdhsa_float_denorm_mode_32 3
		.amdhsa_float_denorm_mode_16_64 3
		.amdhsa_dx10_clamp 1
		.amdhsa_ieee_mode 1
		.amdhsa_fp16_overflow 0
		.amdhsa_tg_split 0
		.amdhsa_exception_fp_ieee_invalid_op 0
		.amdhsa_exception_fp_denorm_src 0
		.amdhsa_exception_fp_ieee_div_zero 0
		.amdhsa_exception_fp_ieee_overflow 0
		.amdhsa_exception_fp_ieee_underflow 0
		.amdhsa_exception_fp_ieee_inexact 0
		.amdhsa_exception_int_div_zero 0
	.end_amdhsa_kernel
	.section	.text._Z16flag_sync_kernelILi5ELi0EEvP15transfer_data_tP16profiling_data_tm,"axG",@progbits,_Z16flag_sync_kernelILi5ELi0EEvP15transfer_data_tP16profiling_data_tm,comdat
.Lfunc_end11:
	.size	_Z16flag_sync_kernelILi5ELi0EEvP15transfer_data_tP16profiling_data_tm, .Lfunc_end11-_Z16flag_sync_kernelILi5ELi0EEvP15transfer_data_tP16profiling_data_tm
                                        ; -- End function
	.set _Z16flag_sync_kernelILi5ELi0EEvP15transfer_data_tP16profiling_data_tm.num_vgpr, 52
	.set _Z16flag_sync_kernelILi5ELi0EEvP15transfer_data_tP16profiling_data_tm.num_agpr, 0
	.set _Z16flag_sync_kernelILi5ELi0EEvP15transfer_data_tP16profiling_data_tm.numbered_sgpr, 21
	.set _Z16flag_sync_kernelILi5ELi0EEvP15transfer_data_tP16profiling_data_tm.num_named_barrier, 0
	.set _Z16flag_sync_kernelILi5ELi0EEvP15transfer_data_tP16profiling_data_tm.private_seg_size, 0
	.set _Z16flag_sync_kernelILi5ELi0EEvP15transfer_data_tP16profiling_data_tm.uses_vcc, 1
	.set _Z16flag_sync_kernelILi5ELi0EEvP15transfer_data_tP16profiling_data_tm.uses_flat_scratch, 0
	.set _Z16flag_sync_kernelILi5ELi0EEvP15transfer_data_tP16profiling_data_tm.has_dyn_sized_stack, 0
	.set _Z16flag_sync_kernelILi5ELi0EEvP15transfer_data_tP16profiling_data_tm.has_recursion, 0
	.set _Z16flag_sync_kernelILi5ELi0EEvP15transfer_data_tP16profiling_data_tm.has_indirect_call, 0
	.section	.AMDGPU.csdata,"",@progbits
; Kernel info:
; codeLenInByte = 1704
; TotalNumSgprs: 27
; NumVgprs: 52
; NumAgprs: 0
; TotalNumVgprs: 52
; ScratchSize: 0
; MemoryBound: 0
; FloatMode: 240
; IeeeMode: 1
; LDSByteSize: 0 bytes/workgroup (compile time only)
; SGPRBlocks: 3
; VGPRBlocks: 6
; NumSGPRsForWavesPerEU: 27
; NumVGPRsForWavesPerEU: 52
; AccumOffset: 52
; Occupancy: 8
; WaveLimiterHint : 1
; COMPUTE_PGM_RSRC2:SCRATCH_EN: 0
; COMPUTE_PGM_RSRC2:USER_SGPR: 2
; COMPUTE_PGM_RSRC2:TRAP_HANDLER: 0
; COMPUTE_PGM_RSRC2:TGID_X_EN: 1
; COMPUTE_PGM_RSRC2:TGID_Y_EN: 0
; COMPUTE_PGM_RSRC2:TGID_Z_EN: 0
; COMPUTE_PGM_RSRC2:TIDIG_COMP_CNT: 0
; COMPUTE_PGM_RSRC3_GFX90A:ACCUM_OFFSET: 12
; COMPUTE_PGM_RSRC3_GFX90A:TG_SPLIT: 0
	.section	.text._Z16flag_sync_kernelILi5ELi1EEvP15transfer_data_tP16profiling_data_tm,"axG",@progbits,_Z16flag_sync_kernelILi5ELi1EEvP15transfer_data_tP16profiling_data_tm,comdat
	.protected	_Z16flag_sync_kernelILi5ELi1EEvP15transfer_data_tP16profiling_data_tm ; -- Begin function _Z16flag_sync_kernelILi5ELi1EEvP15transfer_data_tP16profiling_data_tm
	.globl	_Z16flag_sync_kernelILi5ELi1EEvP15transfer_data_tP16profiling_data_tm
	.p2align	8
	.type	_Z16flag_sync_kernelILi5ELi1EEvP15transfer_data_tP16profiling_data_tm,@function
_Z16flag_sync_kernelILi5ELi1EEvP15transfer_data_tP16profiling_data_tm: ; @_Z16flag_sync_kernelILi5ELi1EEvP15transfer_data_tP16profiling_data_tm
; %bb.0:
	s_load_dwordx4 s[4:7], s[0:1], 0x0
	s_load_dwordx2 s[8:9], s[0:1], 0x10
	v_cmp_eq_u32_e64 s[0:1], 0, v0
	s_waitcnt lgkmcnt(0)
	s_load_dword s18, s[4:5], 0x8c0
	s_and_saveexec_b64 s[10:11], s[0:1]
	s_cbranch_execz .LBB12_10
; %bb.1:
	s_load_dword s12, s[4:5], 0x8c4
	s_load_dwordx2 s[16:17], s[4:5], 0x8d0
	s_mov_b64 s[14:15], src_private_base
	s_waitcnt lgkmcnt(0)
	s_ashr_i32 s13, s12, 31
	s_lshl_b64 s[12:13], s[12:13], 3
	s_add_u32 s12, s16, s12
	s_addc_u32 s13, s17, s13
	s_cmp_eq_u32 s13, s15
	s_cselect_b64 s[14:15], -1, 0
	s_andn2_b64 vcc, exec, s[14:15]
	s_mov_b64 s[14:15], -1
	s_cbranch_vccz .LBB12_3
; %bb.2:
	v_mov_b64_e32 v[2:3], 1
	v_mov_b64_e32 v[4:5], s[12:13]
	buffer_wbl2 sc0 sc1
	flat_atomic_add_x2 v[4:5], v[2:3] sc1
	s_waitcnt vmcnt(0) lgkmcnt(0)
	buffer_inv sc0 sc1
	s_mov_b64 s[14:15], 0
.LBB12_3:
	s_andn2_b64 vcc, exec, s[14:15]
	s_cbranch_vccnz .LBB12_5
; %bb.4:
	s_cmp_lg_u64 s[12:13], 0
	s_cselect_b32 s3, s12, -1
	scratch_load_dwordx2 v[2:3], off, s3
	s_waitcnt vmcnt(0)
	v_lshl_add_u64 v[2:3], v[2:3], 0, 1
	scratch_store_dwordx2 off, v[2:3], s3
.LBB12_5:
	v_mov_b32_e32 v1, 0
	global_load_dword v2, v1, s[4:5] offset:2248
	s_waitcnt vmcnt(0)
	v_cmp_gt_i32_e32 vcc, 1, v2
	s_cbranch_vccnz .LBB12_10
; %bb.6:
	s_mov_b32 s13, 0
	s_mov_b32 s12, s13
.LBB12_7:                               ; =>This Loop Header: Depth=1
                                        ;     Child Loop BB12_8 Depth 2
	s_mov_b64 s[14:15], 0
	s_lshl_b64 s[16:17], s[12:13], 3
.LBB12_8:                               ;   Parent Loop BB12_7 Depth=1
                                        ; =>  This Inner Loop Header: Depth=2
	global_load_dwordx2 v[2:3], v1, s[4:5] offset:2256
	s_waitcnt vmcnt(0)
	v_lshl_add_u64 v[2:3], v[2:3], 0, s[16:17]
	flat_load_dwordx2 v[2:3], v[2:3] sc0 sc1
	s_waitcnt vmcnt(0) lgkmcnt(0)
	buffer_inv sc0 sc1
	v_cmp_le_u64_e32 vcc, s[8:9], v[2:3]
	s_or_b64 s[14:15], vcc, s[14:15]
	s_andn2_b64 exec, exec, s[14:15]
	s_cbranch_execnz .LBB12_8
; %bb.9:                                ;   in Loop: Header=BB12_7 Depth=1
	s_or_b64 exec, exec, s[14:15]
	global_load_dword v2, v1, s[4:5] offset:2248
	s_add_i32 s12, s12, 1
	s_waitcnt vmcnt(0)
	v_cmp_lt_i32_e32 vcc, s12, v2
	s_cbranch_vccnz .LBB12_7
.LBB12_10:
	s_or_b64 exec, exec, s[10:11]
	s_waitcnt lgkmcnt(0)
	s_barrier
                                        ; implicit-def: $sgpr8_sgpr9
	s_and_saveexec_b64 s[10:11], s[0:1]
; %bb.11:
	s_memrealtime s[8:9]
; %bb.12:
	s_or_b64 exec, exec, s[10:11]
	s_ashr_i32 s3, s2, 31
	s_cmp_lt_i32 s18, 1
	s_cbranch_scc1 .LBB12_34
; %bb.13:
	s_lshl_b64 s[10:11], s[2:3], 3
	s_add_u32 s4, s4, s10
	s_addc_u32 s5, s5, s11
	v_mov_b32_e32 v1, 0
	global_load_dwordx2 v[8:9], v1, s[4:5] offset:448
	global_load_dwordx2 v[6:7], v1, s[4:5] offset:1792
	;; [unrolled: 1-line block ×3, first 2 shown]
	global_load_dwordx2 v[4:5], v1, s[4:5]
	v_lshrrev_b32_e32 v1, 6, v0
	v_and_b32_e32 v11, 63, v0
	s_mov_b32 s10, 0
	s_waitcnt vmcnt(2)
	v_or_b32_e32 v10, v6, v8
	s_waitcnt vmcnt(0)
	v_or_b32_e32 v10, v10, v4
	v_or_b32_e32 v10, v10, v2
	v_and_b32_e32 v10, 3, v10
	v_cmp_eq_u32_e32 vcc, 0, v10
	v_lshl_or_b32 v10, v1, 8, v11
	s_cbranch_vccnz .LBB12_24
; %bb.14:
	v_lshl_or_b32 v1, v1, 8, v11
	s_mov_b64 s[4:5], -1
	s_cbranch_execnz .LBB12_25
.LBB12_15:
	s_lshr_b32 s10, s18, 2
	s_and_b32 s16, s10, 0x1fffff00
	v_cmp_gt_u32_e32 vcc, s16, v10
	s_and_saveexec_b64 s[10:11], vcc
	s_cbranch_execz .LBB12_18
; %bb.16:
	v_lshlrev_b32_e32 v18, 4, v10
	v_mov_b32_e32 v19, 0
	v_lshl_add_u64 v[12:13], v[2:3], 0, v[18:19]
	v_lshl_add_u64 v[14:15], v[4:5], 0, v[18:19]
	;; [unrolled: 1-line block ×4, first 2 shown]
	s_mov_b64 s[12:13], 0
	s_mov_b64 s[14:15], 0x4000
	v_mov_b32_e32 v1, v10
.LBB12_17:                              ; =>This Inner Loop Header: Depth=1
	flat_load_dwordx4 v[20:23], v[16:17] nt
	flat_load_dwordx4 v[24:27], v[18:19] nt
	flat_load_dwordx4 v[28:31], v[18:19] offset:1024 nt
	flat_load_dwordx4 v[32:35], v[16:17] offset:1024 nt
	;; [unrolled: 1-line block ×6, first 2 shown]
	v_add_u32_e32 v1, 0x400, v1
	v_cmp_le_u32_e32 vcc, s16, v1
	v_lshl_add_u64 v[18:19], v[18:19], 0, s[14:15]
	v_lshl_add_u64 v[16:17], v[16:17], 0, s[14:15]
	s_or_b64 s[12:13], vcc, s[12:13]
	s_waitcnt vmcnt(0) lgkmcnt(0)
	v_add_f32_e32 v20, v24, v20
	v_add_f32_e32 v21, v25, v21
	;; [unrolled: 1-line block ×16, first 2 shown]
	flat_store_dwordx4 v[14:15], v[20:23] nt
	flat_store_dwordx4 v[14:15], v[24:27] offset:1024 nt
	flat_store_dwordx4 v[14:15], v[28:31] offset:2048 nt
	;; [unrolled: 1-line block ×3, first 2 shown]
	flat_store_dwordx4 v[12:13], v[20:23] nt
	flat_store_dwordx4 v[12:13], v[24:27] offset:1024 nt
	flat_store_dwordx4 v[12:13], v[28:31] offset:2048 nt
	;; [unrolled: 1-line block ×3, first 2 shown]
	v_lshl_add_u64 v[14:15], v[14:15], 0, s[14:15]
	v_lshl_add_u64 v[12:13], v[12:13], 0, s[14:15]
	s_andn2_b64 exec, exec, s[12:13]
	s_cbranch_execnz .LBB12_17
.LBB12_18:
	s_or_b64 exec, exec, s[10:11]
	s_lshl_b32 s10, s16, 2
	s_cmp_eq_u32 s18, s10
	s_cbranch_scc1 .LBB12_26
; %bb.19:
	s_sub_i32 s19, s18, s10
	s_ashr_i32 s20, s19, 2
	v_cmp_gt_i32_e32 vcc, s20, v0
	s_and_saveexec_b64 s[12:13], vcc
	s_cbranch_execz .LBB12_22
; %bb.20:
	s_mov_b32 s11, 0
	s_lshl_b64 s[14:15], s[10:11], 2
	v_lshl_add_u64 v[12:13], v[8:9], 0, s[14:15]
	v_lshlrev_b32_e32 v18, 4, v0
	v_mov_b32_e32 v19, 0
	v_lshl_add_u64 v[14:15], v[6:7], 0, s[14:15]
	v_lshl_add_u64 v[16:17], v[4:5], 0, s[14:15]
	v_lshl_add_u64 v[20:21], v[2:3], 0, s[14:15]
	v_lshl_add_u64 v[12:13], v[12:13], 0, v[18:19]
	v_lshl_add_u64 v[14:15], v[14:15], 0, v[18:19]
	v_lshl_add_u64 v[16:17], v[16:17], 0, v[18:19]
	v_lshl_add_u64 v[18:19], v[20:21], 0, v[18:19]
	s_mov_b64 s[14:15], 0
	s_mov_b64 s[16:17], 0x1000
	v_mov_b32_e32 v1, v0
.LBB12_21:                              ; =>This Inner Loop Header: Depth=1
	flat_load_dwordx4 v[20:23], v[12:13] nt
	flat_load_dwordx4 v[24:27], v[14:15] nt
	v_add_u32_e32 v1, 0x100, v1
	v_cmp_le_i32_e32 vcc, s20, v1
	v_lshl_add_u64 v[12:13], v[12:13], 0, s[16:17]
	v_lshl_add_u64 v[14:15], v[14:15], 0, s[16:17]
	s_or_b64 s[14:15], vcc, s[14:15]
	s_waitcnt vmcnt(0) lgkmcnt(0)
	v_add_f32_e32 v20, v20, v24
	v_add_f32_e32 v21, v21, v25
	;; [unrolled: 1-line block ×4, first 2 shown]
	flat_store_dwordx4 v[16:17], v[20:23]
	flat_store_dwordx4 v[18:19], v[20:23]
	v_lshl_add_u64 v[16:17], v[16:17], 0, s[16:17]
	v_lshl_add_u64 v[18:19], v[18:19], 0, s[16:17]
	s_andn2_b64 exec, exec, s[14:15]
	s_cbranch_execnz .LBB12_21
.LBB12_22:
	s_or_b64 exec, exec, s[12:13]
	s_and_b32 s16, s18, 3
	s_cmp_eq_u32 s16, 0
	s_cbranch_scc1 .LBB12_27
; %bb.23:
	s_and_b32 s4, s19, -4
	s_add_i32 s10, s4, s10
	s_cbranch_execnz .LBB12_28
	s_branch .LBB12_34
.LBB12_24:
	s_mov_b64 s[4:5], 0
                                        ; implicit-def: $vgpr1
	s_branch .LBB12_15
.LBB12_25:
	s_mov_b32 s16, s18
	v_mov_b32_e32 v10, v1
	s_and_b64 vcc, exec, s[4:5]
	s_cbranch_vccnz .LBB12_28
	s_branch .LBB12_34
.LBB12_26:
                                        ; implicit-def: $sgpr16
.LBB12_27:
                                        ; implicit-def: $sgpr10
	s_and_b64 vcc, exec, s[4:5]
	s_cbranch_vccz .LBB12_34
.LBB12_28:
	s_and_b32 s17, s16, 0x7fffff00
	v_cmp_gt_u32_e32 vcc, s17, v10
	s_and_saveexec_b64 s[4:5], vcc
	s_cbranch_execz .LBB12_31
; %bb.29:
	s_ashr_i32 s11, s10, 31
	s_lshl_b64 s[12:13], s[10:11], 2
	v_mov_b32_e32 v11, 0
	v_lshl_add_u64 v[12:13], v[8:9], 0, s[12:13]
	v_lshlrev_b64 v[18:19], 2, v[10:11]
	v_lshl_add_u64 v[14:15], v[6:7], 0, s[12:13]
	v_lshl_add_u64 v[16:17], v[4:5], 0, s[12:13]
	;; [unrolled: 1-line block ×7, first 2 shown]
	s_mov_b64 s[12:13], 0
	s_mov_b64 s[14:15], 0x1000
.LBB12_30:                              ; =>This Inner Loop Header: Depth=1
	flat_load_dword v1, v[12:13] nt
	flat_load_dword v11, v[12:13] offset:256 nt
	flat_load_dword v20, v[12:13] offset:512 nt
	;; [unrolled: 1-line block ×3, first 2 shown]
	flat_load_dword v22, v[14:15] nt
	flat_load_dword v23, v[14:15] offset:256 nt
	flat_load_dword v24, v[14:15] offset:512 nt
	;; [unrolled: 1-line block ×3, first 2 shown]
	v_add_u32_e32 v10, 0x400, v10
	v_cmp_le_u32_e32 vcc, s17, v10
	v_lshl_add_u64 v[12:13], v[12:13], 0, s[14:15]
	v_lshl_add_u64 v[14:15], v[14:15], 0, s[14:15]
	s_or_b64 s[12:13], vcc, s[12:13]
	s_waitcnt vmcnt(0) lgkmcnt(0)
	v_add_f32_e32 v1, v1, v22
	v_add_f32_e32 v11, v11, v23
	;; [unrolled: 1-line block ×4, first 2 shown]
	flat_store_dword v[16:17], v1 nt
	flat_store_dword v[16:17], v11 offset:256 nt
	flat_store_dword v[16:17], v20 offset:512 nt
	;; [unrolled: 1-line block ×3, first 2 shown]
	flat_store_dword v[18:19], v1 nt
	flat_store_dword v[18:19], v11 offset:256 nt
	flat_store_dword v[18:19], v20 offset:512 nt
	;; [unrolled: 1-line block ×3, first 2 shown]
	v_lshl_add_u64 v[16:17], v[16:17], 0, s[14:15]
	v_lshl_add_u64 v[18:19], v[18:19], 0, s[14:15]
	s_andn2_b64 exec, exec, s[12:13]
	s_cbranch_execnz .LBB12_30
.LBB12_31:
	s_or_b64 exec, exec, s[4:5]
	s_and_b32 s11, s16, 0xff
	s_cmp_lg_u32 s11, 0
	s_cselect_b64 s[4:5], -1, 0
	v_cmp_gt_u32_e32 vcc, s11, v0
	s_and_b64 s[12:13], s[4:5], vcc
	s_and_saveexec_b64 s[4:5], s[12:13]
	s_cbranch_execz .LBB12_33
; %bb.32:
	s_add_i32 s10, s17, s10
	s_ashr_i32 s11, s10, 31
	s_lshl_b64 s[10:11], s[10:11], 2
	v_lshl_add_u64 v[8:9], v[8:9], 0, s[10:11]
	v_lshlrev_b32_e32 v0, 2, v0
	v_mov_b32_e32 v1, 0
	v_lshl_add_u64 v[8:9], v[8:9], 0, v[0:1]
	v_lshl_add_u64 v[6:7], v[6:7], 0, s[10:11]
	;; [unrolled: 1-line block ×3, first 2 shown]
	flat_load_dword v10, v[8:9] nt
	flat_load_dword v11, v[6:7] nt
	v_lshl_add_u64 v[4:5], v[4:5], 0, s[10:11]
	v_lshl_add_u64 v[2:3], v[2:3], 0, s[10:11]
	;; [unrolled: 1-line block ×4, first 2 shown]
	s_waitcnt vmcnt(0) lgkmcnt(0)
	v_add_f32_e32 v2, v10, v11
	flat_store_dword v[4:5], v2 nt
	flat_store_dword v[0:1], v2 nt
.LBB12_33:
	s_or_b64 exec, exec, s[4:5]
.LBB12_34:
	s_waitcnt lgkmcnt(0)
	s_barrier
	s_and_saveexec_b64 s[4:5], s[0:1]
	s_cbranch_execz .LBB12_39
; %bb.35:
	s_memrealtime s[10:11]
	s_mov_b64 s[4:5], exec
	s_lshl_b64 s[0:1], s[2:3], 3
	v_mbcnt_lo_u32_b32 v0, s4, 0
	s_add_u32 s0, s6, s0
	v_mbcnt_hi_u32_b32 v0, s5, v0
	s_addc_u32 s1, s7, s1
	v_cmp_eq_u32_e32 vcc, 0, v0
	s_and_saveexec_b64 s[2:3], vcc
	s_cbranch_execz .LBB12_37
; %bb.36:
	s_waitcnt lgkmcnt(0)
	s_sub_u32 s6, s10, s8
	s_subb_u32 s7, s11, s9
	s_bcnt1_i32_b64 s4, s[4:5]
	s_mul_i32 s7, s7, s4
	s_mul_hi_u32 s5, s6, s4
	s_add_i32 s5, s5, s7
	s_mul_i32 s6, s6, s4
	v_mov_b32_e32 v0, s6
	v_mov_b32_e32 v1, s5
	;; [unrolled: 1-line block ×3, first 2 shown]
	buffer_wbl2 sc0 sc1
	s_waitcnt vmcnt(0)
	global_atomic_add_x2 v2, v[0:1], s[0:1] sc1
	s_waitcnt vmcnt(0)
	buffer_inv sc0 sc1
.LBB12_37:
	s_or_b64 exec, exec, s[2:3]
	s_mov_b64 s[2:3], exec
	v_mbcnt_lo_u32_b32 v0, s2, 0
	v_mbcnt_hi_u32_b32 v0, s3, v0
	v_cmp_eq_u32_e32 vcc, 0, v0
	s_and_b64 s[4:5], exec, vcc
	s_mov_b64 exec, s[4:5]
	s_cbranch_execz .LBB12_39
; %bb.38:
	s_bcnt1_i32_b64 s2, s[2:3]
	s_mul_hi_i32 s3, s18, s2
	s_mul_i32 s2, s18, s2
	s_lshl_b64 s[2:3], s[2:3], 2
	v_mov_b32_e32 v0, 0
	v_mov_b64_e32 v[2:3], s[2:3]
	buffer_wbl2 sc0 sc1
	s_waitcnt vmcnt(0) lgkmcnt(0)
	global_atomic_add_x2 v0, v[2:3], s[0:1] offset:448 sc1
	s_waitcnt vmcnt(0)
	buffer_inv sc0 sc1
.LBB12_39:
	s_endpgm
	.section	.rodata,"a",@progbits
	.p2align	6, 0x0
	.amdhsa_kernel _Z16flag_sync_kernelILi5ELi1EEvP15transfer_data_tP16profiling_data_tm
		.amdhsa_group_segment_fixed_size 0
		.amdhsa_private_segment_fixed_size 0
		.amdhsa_kernarg_size 24
		.amdhsa_user_sgpr_count 2
		.amdhsa_user_sgpr_dispatch_ptr 0
		.amdhsa_user_sgpr_queue_ptr 0
		.amdhsa_user_sgpr_kernarg_segment_ptr 1
		.amdhsa_user_sgpr_dispatch_id 0
		.amdhsa_user_sgpr_kernarg_preload_length 0
		.amdhsa_user_sgpr_kernarg_preload_offset 0
		.amdhsa_user_sgpr_private_segment_size 0
		.amdhsa_uses_dynamic_stack 0
		.amdhsa_enable_private_segment 0
		.amdhsa_system_sgpr_workgroup_id_x 1
		.amdhsa_system_sgpr_workgroup_id_y 0
		.amdhsa_system_sgpr_workgroup_id_z 0
		.amdhsa_system_sgpr_workgroup_info 0
		.amdhsa_system_vgpr_workitem_id 0
		.amdhsa_next_free_vgpr 52
		.amdhsa_next_free_sgpr 21
		.amdhsa_accum_offset 52
		.amdhsa_reserve_vcc 1
		.amdhsa_float_round_mode_32 0
		.amdhsa_float_round_mode_16_64 0
		.amdhsa_float_denorm_mode_32 3
		.amdhsa_float_denorm_mode_16_64 3
		.amdhsa_dx10_clamp 1
		.amdhsa_ieee_mode 1
		.amdhsa_fp16_overflow 0
		.amdhsa_tg_split 0
		.amdhsa_exception_fp_ieee_invalid_op 0
		.amdhsa_exception_fp_denorm_src 0
		.amdhsa_exception_fp_ieee_div_zero 0
		.amdhsa_exception_fp_ieee_overflow 0
		.amdhsa_exception_fp_ieee_underflow 0
		.amdhsa_exception_fp_ieee_inexact 0
		.amdhsa_exception_int_div_zero 0
	.end_amdhsa_kernel
	.section	.text._Z16flag_sync_kernelILi5ELi1EEvP15transfer_data_tP16profiling_data_tm,"axG",@progbits,_Z16flag_sync_kernelILi5ELi1EEvP15transfer_data_tP16profiling_data_tm,comdat
.Lfunc_end12:
	.size	_Z16flag_sync_kernelILi5ELi1EEvP15transfer_data_tP16profiling_data_tm, .Lfunc_end12-_Z16flag_sync_kernelILi5ELi1EEvP15transfer_data_tP16profiling_data_tm
                                        ; -- End function
	.set _Z16flag_sync_kernelILi5ELi1EEvP15transfer_data_tP16profiling_data_tm.num_vgpr, 52
	.set _Z16flag_sync_kernelILi5ELi1EEvP15transfer_data_tP16profiling_data_tm.num_agpr, 0
	.set _Z16flag_sync_kernelILi5ELi1EEvP15transfer_data_tP16profiling_data_tm.numbered_sgpr, 21
	.set _Z16flag_sync_kernelILi5ELi1EEvP15transfer_data_tP16profiling_data_tm.num_named_barrier, 0
	.set _Z16flag_sync_kernelILi5ELi1EEvP15transfer_data_tP16profiling_data_tm.private_seg_size, 0
	.set _Z16flag_sync_kernelILi5ELi1EEvP15transfer_data_tP16profiling_data_tm.uses_vcc, 1
	.set _Z16flag_sync_kernelILi5ELi1EEvP15transfer_data_tP16profiling_data_tm.uses_flat_scratch, 0
	.set _Z16flag_sync_kernelILi5ELi1EEvP15transfer_data_tP16profiling_data_tm.has_dyn_sized_stack, 0
	.set _Z16flag_sync_kernelILi5ELi1EEvP15transfer_data_tP16profiling_data_tm.has_recursion, 0
	.set _Z16flag_sync_kernelILi5ELi1EEvP15transfer_data_tP16profiling_data_tm.has_indirect_call, 0
	.section	.AMDGPU.csdata,"",@progbits
; Kernel info:
; codeLenInByte = 1836
; TotalNumSgprs: 27
; NumVgprs: 52
; NumAgprs: 0
; TotalNumVgprs: 52
; ScratchSize: 0
; MemoryBound: 0
; FloatMode: 240
; IeeeMode: 1
; LDSByteSize: 0 bytes/workgroup (compile time only)
; SGPRBlocks: 3
; VGPRBlocks: 6
; NumSGPRsForWavesPerEU: 27
; NumVGPRsForWavesPerEU: 52
; AccumOffset: 52
; Occupancy: 8
; WaveLimiterHint : 1
; COMPUTE_PGM_RSRC2:SCRATCH_EN: 0
; COMPUTE_PGM_RSRC2:USER_SGPR: 2
; COMPUTE_PGM_RSRC2:TRAP_HANDLER: 0
; COMPUTE_PGM_RSRC2:TGID_X_EN: 1
; COMPUTE_PGM_RSRC2:TGID_Y_EN: 0
; COMPUTE_PGM_RSRC2:TGID_Z_EN: 0
; COMPUTE_PGM_RSRC2:TIDIG_COMP_CNT: 0
; COMPUTE_PGM_RSRC3_GFX90A:ACCUM_OFFSET: 12
; COMPUTE_PGM_RSRC3_GFX90A:TG_SPLIT: 0
	.section	.text._Z16flag_sync_kernelILi6ELi0EEvP15transfer_data_tP16profiling_data_tm,"axG",@progbits,_Z16flag_sync_kernelILi6ELi0EEvP15transfer_data_tP16profiling_data_tm,comdat
	.protected	_Z16flag_sync_kernelILi6ELi0EEvP15transfer_data_tP16profiling_data_tm ; -- Begin function _Z16flag_sync_kernelILi6ELi0EEvP15transfer_data_tP16profiling_data_tm
	.globl	_Z16flag_sync_kernelILi6ELi0EEvP15transfer_data_tP16profiling_data_tm
	.p2align	8
	.type	_Z16flag_sync_kernelILi6ELi0EEvP15transfer_data_tP16profiling_data_tm,@function
_Z16flag_sync_kernelILi6ELi0EEvP15transfer_data_tP16profiling_data_tm: ; @_Z16flag_sync_kernelILi6ELi0EEvP15transfer_data_tP16profiling_data_tm
; %bb.0:
	s_load_dwordx4 s[4:7], s[0:1], 0x0
	v_cmp_eq_u32_e64 s[0:1], 0, v0
	s_waitcnt lgkmcnt(0)
	s_load_dword s20, s[4:5], 0x8c0
	s_and_saveexec_b64 s[8:9], s[0:1]
	s_cbranch_execz .LBB13_5
; %bb.1:
	s_load_dword s10, s[4:5], 0x8c4
	s_load_dwordx2 s[14:15], s[4:5], 0x8d0
	s_mov_b64 s[12:13], src_private_base
	s_waitcnt lgkmcnt(0)
	s_ashr_i32 s11, s10, 31
	s_lshl_b64 s[10:11], s[10:11], 3
	s_add_u32 s10, s14, s10
	s_addc_u32 s11, s15, s11
	s_cmp_eq_u32 s11, s13
	s_cselect_b64 s[12:13], -1, 0
	s_andn2_b64 vcc, exec, s[12:13]
	s_mov_b64 s[12:13], -1
	s_cbranch_vccz .LBB13_3
; %bb.2:
	v_mov_b64_e32 v[2:3], 1
	v_mov_b64_e32 v[4:5], s[10:11]
	buffer_wbl2 sc0 sc1
	flat_atomic_add_x2 v[4:5], v[2:3] sc1
	s_waitcnt vmcnt(0) lgkmcnt(0)
	buffer_inv sc0 sc1
	s_mov_b64 s[12:13], 0
.LBB13_3:
	s_andn2_b64 vcc, exec, s[12:13]
	s_cbranch_vccnz .LBB13_5
; %bb.4:
	s_cmp_lg_u64 s[10:11], 0
	s_cselect_b32 s3, s10, -1
	scratch_load_dwordx2 v[2:3], off, s3
	s_waitcnt vmcnt(0)
	v_lshl_add_u64 v[2:3], v[2:3], 0, 1
	scratch_store_dwordx2 off, v[2:3], s3
.LBB13_5:
	s_or_b64 exec, exec, s[8:9]
	s_waitcnt lgkmcnt(0)
	s_barrier
                                        ; implicit-def: $sgpr8_sgpr9
	s_and_saveexec_b64 s[10:11], s[0:1]
; %bb.6:
	s_memrealtime s[8:9]
; %bb.7:
	s_or_b64 exec, exec, s[10:11]
	s_ashr_i32 s3, s2, 31
	s_cmp_lt_i32 s20, 1
	s_cbranch_scc1 .LBB13_30
; %bb.8:
	s_lshl_b64 s[10:11], s[2:3], 3
	s_add_u32 s4, s4, s10
	s_addc_u32 s5, s5, s11
	v_mov_b32_e32 v1, 0
	global_load_dwordx2 v[2:3], v1, s[4:5]
	global_load_dwordx2 v[4:5], v1, s[4:5] offset:448
	v_lshrrev_b32_e32 v1, 6, v0
	v_and_b32_e32 v7, 63, v0
	s_mov_b32 s4, 0
	s_waitcnt vmcnt(0)
	v_or_b32_e32 v6, v4, v2
	v_and_b32_e32 v6, 3, v6
	v_cmp_eq_u32_e32 vcc, 0, v6
	v_lshl_or_b32 v6, v1, 9, v7
	s_cbranch_vccnz .LBB13_19
; %bb.9:
	v_lshl_or_b32 v1, v1, 9, v7
	s_mov_b64 s[10:11], -1
	s_cbranch_execnz .LBB13_20
.LBB13_10:
	s_lshr_b32 s4, s20, 2
	s_and_b32 s21, s4, 0x1ffffe00
	v_cmp_gt_u32_e32 vcc, s21, v6
	s_and_saveexec_b64 s[12:13], vcc
	s_cbranch_execz .LBB13_13
; %bb.11:
	v_lshlrev_b32_e32 v10, 4, v6
	v_mov_b32_e32 v11, 0
	v_lshl_add_u64 v[8:9], v[4:5], 0, v[10:11]
	v_lshl_add_u64 v[10:11], v[2:3], 0, v[10:11]
	s_mov_b64 s[14:15], 0
	s_mov_b64 s[16:17], 0x1000
	;; [unrolled: 1-line block ×3, first 2 shown]
	v_mov_b32_e32 v1, v6
.LBB13_12:                              ; =>This Inner Loop Header: Depth=1
	flat_load_dwordx4 v[12:15], v[10:11] nt
	flat_load_dwordx4 v[16:19], v[10:11] offset:1024 nt
	flat_load_dwordx4 v[20:23], v[10:11] offset:2048 nt
	;; [unrolled: 1-line block ×3, first 2 shown]
	v_lshl_add_u64 v[44:45], v[10:11], 0, s[16:17]
	v_add_co_u32_e32 v46, vcc, 0x1000, v10
	v_add_u32_e32 v1, 0x800, v1
	s_nop 0
	v_addc_co_u32_e32 v47, vcc, 0, v11, vcc
	flat_load_dwordx4 v[28:31], v[44:45] offset:1024 nt
	flat_load_dwordx4 v[32:35], v[44:45] offset:2048 nt
	flat_load_dwordx4 v[36:39], v[46:47] nt
	flat_load_dwordx4 v[40:43], v[44:45] offset:3072 nt
	v_add_co_u32_e32 v46, vcc, 0x1000, v8
	v_cmp_le_u32_e64 s[4:5], s21, v1
	v_lshl_add_u64 v[44:45], v[8:9], 0, s[16:17]
	v_lshl_add_u64 v[10:11], v[10:11], 0, s[18:19]
	v_addc_co_u32_e32 v47, vcc, 0, v9, vcc
	s_or_b64 s[14:15], s[4:5], s[14:15]
	s_waitcnt vmcnt(0) lgkmcnt(0)
	flat_store_dwordx4 v[8:9], v[12:15] nt
	flat_store_dwordx4 v[8:9], v[16:19] offset:1024 nt
	flat_store_dwordx4 v[8:9], v[20:23] offset:2048 nt
	flat_store_dwordx4 v[8:9], v[24:27] offset:3072 nt
	v_lshl_add_u64 v[8:9], v[8:9], 0, s[18:19]
	flat_store_dwordx4 v[44:45], v[28:31] offset:1024 nt
	flat_store_dwordx4 v[44:45], v[32:35] offset:2048 nt
	flat_store_dwordx4 v[46:47], v[36:39] nt
	flat_store_dwordx4 v[44:45], v[40:43] offset:3072 nt
	s_andn2_b64 exec, exec, s[14:15]
	s_cbranch_execnz .LBB13_12
.LBB13_13:
	s_or_b64 exec, exec, s[12:13]
	s_lshl_b32 s4, s21, 2
	s_cmp_eq_u32 s20, s4
	s_cbranch_scc1 .LBB13_21
; %bb.14:
	s_sub_i32 s18, s20, s4
	s_ashr_i32 s19, s18, 2
	v_cmp_gt_i32_e32 vcc, s19, v0
	s_and_saveexec_b64 s[12:13], vcc
	s_cbranch_execz .LBB13_17
; %bb.15:
	s_mov_b32 s5, 0
	s_lshl_b64 s[14:15], s[4:5], 2
	v_lshl_add_u64 v[8:9], v[4:5], 0, s[14:15]
	v_lshlrev_b32_e32 v10, 4, v0
	v_mov_b32_e32 v11, 0
	v_lshl_add_u64 v[12:13], v[2:3], 0, s[14:15]
	v_lshl_add_u64 v[8:9], v[8:9], 0, v[10:11]
	v_lshl_add_u64 v[10:11], v[12:13], 0, v[10:11]
	s_mov_b64 s[14:15], 0
	s_mov_b64 s[16:17], 0x1000
	v_mov_b32_e32 v1, v0
.LBB13_16:                              ; =>This Inner Loop Header: Depth=1
	flat_load_dwordx4 v[12:15], v[10:11] nt
	v_add_u32_e32 v1, 0x100, v1
	v_cmp_le_i32_e32 vcc, s19, v1
	v_lshl_add_u64 v[10:11], v[10:11], 0, s[16:17]
	s_or_b64 s[14:15], vcc, s[14:15]
	s_waitcnt vmcnt(0) lgkmcnt(0)
	flat_store_dwordx4 v[8:9], v[12:15]
	v_lshl_add_u64 v[8:9], v[8:9], 0, s[16:17]
	s_andn2_b64 exec, exec, s[14:15]
	s_cbranch_execnz .LBB13_16
.LBB13_17:
	s_or_b64 exec, exec, s[12:13]
	s_and_b32 s16, s20, 3
	s_cmp_eq_u32 s16, 0
	s_cbranch_scc1 .LBB13_22
; %bb.18:
	s_and_b32 s5, s18, -4
	s_add_i32 s4, s5, s4
	s_cbranch_execnz .LBB13_23
	s_branch .LBB13_30
.LBB13_19:
	s_mov_b64 s[10:11], 0
                                        ; implicit-def: $vgpr1
	s_branch .LBB13_10
.LBB13_20:
	s_mov_b32 s16, s20
	v_mov_b32_e32 v6, v1
	s_and_b64 vcc, exec, s[10:11]
	s_cbranch_vccnz .LBB13_23
	s_branch .LBB13_30
.LBB13_21:
                                        ; implicit-def: $sgpr16
.LBB13_22:
                                        ; implicit-def: $sgpr4
	s_and_b64 vcc, exec, s[10:11]
	s_cbranch_vccz .LBB13_30
.LBB13_23:
	s_and_b32 s17, s16, 0x7ffffe00
	v_cmp_gt_u32_e32 vcc, s17, v6
	s_and_saveexec_b64 s[10:11], vcc
	s_cbranch_execz .LBB13_26
; %bb.24:
	s_ashr_i32 s5, s4, 31
	s_lshl_b64 s[12:13], s[4:5], 2
	v_mov_b32_e32 v7, 0
	v_lshl_add_u64 v[8:9], v[4:5], 0, s[12:13]
	v_lshlrev_b64 v[10:11], 2, v[6:7]
	v_lshl_add_u64 v[12:13], v[2:3], 0, s[12:13]
	v_lshl_add_u64 v[8:9], v[8:9], 0, v[10:11]
	;; [unrolled: 1-line block ×3, first 2 shown]
	s_mov_b64 s[12:13], 0
	s_mov_b64 s[14:15], 0x2000
.LBB13_25:                              ; =>This Inner Loop Header: Depth=1
	flat_load_dword v1, v[10:11] nt
	flat_load_dword v7, v[10:11] offset:256 nt
	flat_load_dword v12, v[10:11] offset:512 nt
	;; [unrolled: 1-line block ×7, first 2 shown]
	v_add_u32_e32 v6, 0x800, v6
	v_cmp_le_u32_e32 vcc, s17, v6
	v_lshl_add_u64 v[10:11], v[10:11], 0, s[14:15]
	s_or_b64 s[12:13], vcc, s[12:13]
	s_waitcnt vmcnt(0) lgkmcnt(0)
	flat_store_dword v[8:9], v1 nt
	flat_store_dword v[8:9], v7 offset:256 nt
	flat_store_dword v[8:9], v12 offset:512 nt
	;; [unrolled: 1-line block ×7, first 2 shown]
	v_lshl_add_u64 v[8:9], v[8:9], 0, s[14:15]
	s_andn2_b64 exec, exec, s[12:13]
	s_cbranch_execnz .LBB13_25
.LBB13_26:
	s_or_b64 exec, exec, s[10:11]
	s_and_b32 s14, s16, 0x1ff
	s_cmp_lg_u32 s14, 0
	s_cselect_b64 s[10:11], -1, 0
	v_cmp_gt_u32_e32 vcc, s14, v0
	s_and_b64 s[12:13], s[10:11], vcc
	s_and_saveexec_b64 s[10:11], s[12:13]
	s_cbranch_execz .LBB13_29
; %bb.27:
	s_add_i32 s4, s17, s4
	s_ashr_i32 s5, s4, 31
	s_lshl_b64 s[4:5], s[4:5], 2
	v_lshl_add_u64 v[4:5], v[4:5], 0, s[4:5]
	v_lshlrev_b32_e32 v6, 2, v0
	v_mov_b32_e32 v7, 0
	v_lshl_add_u64 v[2:3], v[2:3], 0, s[4:5]
	v_lshl_add_u64 v[4:5], v[4:5], 0, v[6:7]
	;; [unrolled: 1-line block ×3, first 2 shown]
	s_mov_b64 s[4:5], 0
	s_mov_b64 s[12:13], 0x400
.LBB13_28:                              ; =>This Inner Loop Header: Depth=1
	flat_load_dword v1, v[2:3] nt
	v_add_u32_e32 v0, 0x100, v0
	v_cmp_le_u32_e32 vcc, s14, v0
	v_lshl_add_u64 v[2:3], v[2:3], 0, s[12:13]
	s_or_b64 s[4:5], vcc, s[4:5]
	s_waitcnt vmcnt(0) lgkmcnt(0)
	flat_store_dword v[4:5], v1 nt
	v_lshl_add_u64 v[4:5], v[4:5], 0, s[12:13]
	s_andn2_b64 exec, exec, s[4:5]
	s_cbranch_execnz .LBB13_28
.LBB13_29:
	s_or_b64 exec, exec, s[10:11]
.LBB13_30:
	s_waitcnt lgkmcnt(0)
	s_barrier
	s_and_saveexec_b64 s[4:5], s[0:1]
	s_cbranch_execz .LBB13_35
; %bb.31:
	s_memrealtime s[10:11]
	s_mov_b64 s[4:5], exec
	s_lshl_b64 s[0:1], s[2:3], 3
	v_mbcnt_lo_u32_b32 v0, s4, 0
	s_add_u32 s0, s6, s0
	v_mbcnt_hi_u32_b32 v0, s5, v0
	s_addc_u32 s1, s7, s1
	v_cmp_eq_u32_e32 vcc, 0, v0
	s_and_saveexec_b64 s[2:3], vcc
	s_cbranch_execz .LBB13_33
; %bb.32:
	s_waitcnt lgkmcnt(0)
	s_sub_u32 s6, s10, s8
	s_subb_u32 s7, s11, s9
	s_bcnt1_i32_b64 s4, s[4:5]
	s_mul_i32 s7, s7, s4
	s_mul_hi_u32 s5, s6, s4
	s_add_i32 s5, s5, s7
	s_mul_i32 s6, s6, s4
	v_mov_b32_e32 v0, s6
	v_mov_b32_e32 v1, s5
	;; [unrolled: 1-line block ×3, first 2 shown]
	buffer_wbl2 sc0 sc1
	s_waitcnt vmcnt(0)
	global_atomic_add_x2 v2, v[0:1], s[0:1] sc1
	s_waitcnt vmcnt(0)
	buffer_inv sc0 sc1
.LBB13_33:
	s_or_b64 exec, exec, s[2:3]
	s_mov_b64 s[2:3], exec
	v_mbcnt_lo_u32_b32 v0, s2, 0
	v_mbcnt_hi_u32_b32 v0, s3, v0
	v_cmp_eq_u32_e32 vcc, 0, v0
	s_and_b64 s[4:5], exec, vcc
	s_mov_b64 exec, s[4:5]
	s_cbranch_execz .LBB13_35
; %bb.34:
	s_bcnt1_i32_b64 s2, s[2:3]
	s_mul_hi_i32 s3, s20, s2
	s_mul_i32 s2, s20, s2
	s_lshl_b64 s[2:3], s[2:3], 2
	v_mov_b32_e32 v0, 0
	v_mov_b64_e32 v[2:3], s[2:3]
	buffer_wbl2 sc0 sc1
	s_waitcnt vmcnt(0) lgkmcnt(0)
	global_atomic_add_x2 v0, v[2:3], s[0:1] offset:448 sc1
	s_waitcnt vmcnt(0)
	buffer_inv sc0 sc1
.LBB13_35:
	s_endpgm
	.section	.rodata,"a",@progbits
	.p2align	6, 0x0
	.amdhsa_kernel _Z16flag_sync_kernelILi6ELi0EEvP15transfer_data_tP16profiling_data_tm
		.amdhsa_group_segment_fixed_size 0
		.amdhsa_private_segment_fixed_size 0
		.amdhsa_kernarg_size 24
		.amdhsa_user_sgpr_count 2
		.amdhsa_user_sgpr_dispatch_ptr 0
		.amdhsa_user_sgpr_queue_ptr 0
		.amdhsa_user_sgpr_kernarg_segment_ptr 1
		.amdhsa_user_sgpr_dispatch_id 0
		.amdhsa_user_sgpr_kernarg_preload_length 0
		.amdhsa_user_sgpr_kernarg_preload_offset 0
		.amdhsa_user_sgpr_private_segment_size 0
		.amdhsa_uses_dynamic_stack 0
		.amdhsa_enable_private_segment 0
		.amdhsa_system_sgpr_workgroup_id_x 1
		.amdhsa_system_sgpr_workgroup_id_y 0
		.amdhsa_system_sgpr_workgroup_id_z 0
		.amdhsa_system_sgpr_workgroup_info 0
		.amdhsa_system_vgpr_workitem_id 0
		.amdhsa_next_free_vgpr 48
		.amdhsa_next_free_sgpr 22
		.amdhsa_accum_offset 48
		.amdhsa_reserve_vcc 1
		.amdhsa_float_round_mode_32 0
		.amdhsa_float_round_mode_16_64 0
		.amdhsa_float_denorm_mode_32 3
		.amdhsa_float_denorm_mode_16_64 3
		.amdhsa_dx10_clamp 1
		.amdhsa_ieee_mode 1
		.amdhsa_fp16_overflow 0
		.amdhsa_tg_split 0
		.amdhsa_exception_fp_ieee_invalid_op 0
		.amdhsa_exception_fp_denorm_src 0
		.amdhsa_exception_fp_ieee_div_zero 0
		.amdhsa_exception_fp_ieee_overflow 0
		.amdhsa_exception_fp_ieee_underflow 0
		.amdhsa_exception_fp_ieee_inexact 0
		.amdhsa_exception_int_div_zero 0
	.end_amdhsa_kernel
	.section	.text._Z16flag_sync_kernelILi6ELi0EEvP15transfer_data_tP16profiling_data_tm,"axG",@progbits,_Z16flag_sync_kernelILi6ELi0EEvP15transfer_data_tP16profiling_data_tm,comdat
.Lfunc_end13:
	.size	_Z16flag_sync_kernelILi6ELi0EEvP15transfer_data_tP16profiling_data_tm, .Lfunc_end13-_Z16flag_sync_kernelILi6ELi0EEvP15transfer_data_tP16profiling_data_tm
                                        ; -- End function
	.set _Z16flag_sync_kernelILi6ELi0EEvP15transfer_data_tP16profiling_data_tm.num_vgpr, 48
	.set _Z16flag_sync_kernelILi6ELi0EEvP15transfer_data_tP16profiling_data_tm.num_agpr, 0
	.set _Z16flag_sync_kernelILi6ELi0EEvP15transfer_data_tP16profiling_data_tm.numbered_sgpr, 22
	.set _Z16flag_sync_kernelILi6ELi0EEvP15transfer_data_tP16profiling_data_tm.num_named_barrier, 0
	.set _Z16flag_sync_kernelILi6ELi0EEvP15transfer_data_tP16profiling_data_tm.private_seg_size, 0
	.set _Z16flag_sync_kernelILi6ELi0EEvP15transfer_data_tP16profiling_data_tm.uses_vcc, 1
	.set _Z16flag_sync_kernelILi6ELi0EEvP15transfer_data_tP16profiling_data_tm.uses_flat_scratch, 0
	.set _Z16flag_sync_kernelILi6ELi0EEvP15transfer_data_tP16profiling_data_tm.has_dyn_sized_stack, 0
	.set _Z16flag_sync_kernelILi6ELi0EEvP15transfer_data_tP16profiling_data_tm.has_recursion, 0
	.set _Z16flag_sync_kernelILi6ELi0EEvP15transfer_data_tP16profiling_data_tm.has_indirect_call, 0
	.section	.AMDGPU.csdata,"",@progbits
; Kernel info:
; codeLenInByte = 1492
; TotalNumSgprs: 28
; NumVgprs: 48
; NumAgprs: 0
; TotalNumVgprs: 48
; ScratchSize: 0
; MemoryBound: 0
; FloatMode: 240
; IeeeMode: 1
; LDSByteSize: 0 bytes/workgroup (compile time only)
; SGPRBlocks: 3
; VGPRBlocks: 5
; NumSGPRsForWavesPerEU: 28
; NumVGPRsForWavesPerEU: 48
; AccumOffset: 48
; Occupancy: 8
; WaveLimiterHint : 1
; COMPUTE_PGM_RSRC2:SCRATCH_EN: 0
; COMPUTE_PGM_RSRC2:USER_SGPR: 2
; COMPUTE_PGM_RSRC2:TRAP_HANDLER: 0
; COMPUTE_PGM_RSRC2:TGID_X_EN: 1
; COMPUTE_PGM_RSRC2:TGID_Y_EN: 0
; COMPUTE_PGM_RSRC2:TGID_Z_EN: 0
; COMPUTE_PGM_RSRC2:TIDIG_COMP_CNT: 0
; COMPUTE_PGM_RSRC3_GFX90A:ACCUM_OFFSET: 11
; COMPUTE_PGM_RSRC3_GFX90A:TG_SPLIT: 0
	.section	.text._Z16flag_sync_kernelILi6ELi1EEvP15transfer_data_tP16profiling_data_tm,"axG",@progbits,_Z16flag_sync_kernelILi6ELi1EEvP15transfer_data_tP16profiling_data_tm,comdat
	.protected	_Z16flag_sync_kernelILi6ELi1EEvP15transfer_data_tP16profiling_data_tm ; -- Begin function _Z16flag_sync_kernelILi6ELi1EEvP15transfer_data_tP16profiling_data_tm
	.globl	_Z16flag_sync_kernelILi6ELi1EEvP15transfer_data_tP16profiling_data_tm
	.p2align	8
	.type	_Z16flag_sync_kernelILi6ELi1EEvP15transfer_data_tP16profiling_data_tm,@function
_Z16flag_sync_kernelILi6ELi1EEvP15transfer_data_tP16profiling_data_tm: ; @_Z16flag_sync_kernelILi6ELi1EEvP15transfer_data_tP16profiling_data_tm
; %bb.0:
	s_load_dwordx4 s[4:7], s[0:1], 0x0
	s_load_dwordx2 s[8:9], s[0:1], 0x10
	v_cmp_eq_u32_e64 s[0:1], 0, v0
	s_waitcnt lgkmcnt(0)
	s_load_dword s20, s[4:5], 0x8c0
	s_and_saveexec_b64 s[10:11], s[0:1]
	s_cbranch_execz .LBB14_10
; %bb.1:
	s_load_dword s12, s[4:5], 0x8c4
	s_load_dwordx2 s[16:17], s[4:5], 0x8d0
	s_mov_b64 s[14:15], src_private_base
	s_waitcnt lgkmcnt(0)
	s_ashr_i32 s13, s12, 31
	s_lshl_b64 s[12:13], s[12:13], 3
	s_add_u32 s12, s16, s12
	s_addc_u32 s13, s17, s13
	s_cmp_eq_u32 s13, s15
	s_cselect_b64 s[14:15], -1, 0
	s_andn2_b64 vcc, exec, s[14:15]
	s_mov_b64 s[14:15], -1
	s_cbranch_vccz .LBB14_3
; %bb.2:
	v_mov_b64_e32 v[2:3], 1
	v_mov_b64_e32 v[4:5], s[12:13]
	buffer_wbl2 sc0 sc1
	flat_atomic_add_x2 v[4:5], v[2:3] sc1
	s_waitcnt vmcnt(0) lgkmcnt(0)
	buffer_inv sc0 sc1
	s_mov_b64 s[14:15], 0
.LBB14_3:
	s_andn2_b64 vcc, exec, s[14:15]
	s_cbranch_vccnz .LBB14_5
; %bb.4:
	s_cmp_lg_u64 s[12:13], 0
	s_cselect_b32 s3, s12, -1
	scratch_load_dwordx2 v[2:3], off, s3
	s_waitcnt vmcnt(0)
	v_lshl_add_u64 v[2:3], v[2:3], 0, 1
	scratch_store_dwordx2 off, v[2:3], s3
.LBB14_5:
	v_mov_b32_e32 v1, 0
	global_load_dword v2, v1, s[4:5] offset:2248
	s_waitcnt vmcnt(0)
	v_cmp_gt_i32_e32 vcc, 1, v2
	s_cbranch_vccnz .LBB14_10
; %bb.6:
	s_mov_b32 s13, 0
	s_mov_b32 s12, s13
.LBB14_7:                               ; =>This Loop Header: Depth=1
                                        ;     Child Loop BB14_8 Depth 2
	s_mov_b64 s[14:15], 0
	s_lshl_b64 s[16:17], s[12:13], 3
.LBB14_8:                               ;   Parent Loop BB14_7 Depth=1
                                        ; =>  This Inner Loop Header: Depth=2
	global_load_dwordx2 v[2:3], v1, s[4:5] offset:2256
	s_waitcnt vmcnt(0)
	v_lshl_add_u64 v[2:3], v[2:3], 0, s[16:17]
	flat_load_dwordx2 v[2:3], v[2:3] sc0 sc1
	s_waitcnt vmcnt(0) lgkmcnt(0)
	buffer_inv sc0 sc1
	v_cmp_le_u64_e32 vcc, s[8:9], v[2:3]
	s_or_b64 s[14:15], vcc, s[14:15]
	s_andn2_b64 exec, exec, s[14:15]
	s_cbranch_execnz .LBB14_8
; %bb.9:                                ;   in Loop: Header=BB14_7 Depth=1
	s_or_b64 exec, exec, s[14:15]
	global_load_dword v2, v1, s[4:5] offset:2248
	s_add_i32 s12, s12, 1
	s_waitcnt vmcnt(0)
	v_cmp_lt_i32_e32 vcc, s12, v2
	s_cbranch_vccnz .LBB14_7
.LBB14_10:
	s_or_b64 exec, exec, s[10:11]
	s_waitcnt lgkmcnt(0)
	s_barrier
                                        ; implicit-def: $sgpr8_sgpr9
	s_and_saveexec_b64 s[10:11], s[0:1]
; %bb.11:
	s_memrealtime s[8:9]
; %bb.12:
	s_or_b64 exec, exec, s[10:11]
	s_ashr_i32 s3, s2, 31
	s_cmp_lt_i32 s20, 1
	s_cbranch_scc1 .LBB14_35
; %bb.13:
	s_lshl_b64 s[10:11], s[2:3], 3
	s_add_u32 s4, s4, s10
	s_addc_u32 s5, s5, s11
	v_mov_b32_e32 v1, 0
	global_load_dwordx2 v[2:3], v1, s[4:5]
	global_load_dwordx2 v[4:5], v1, s[4:5] offset:448
	v_lshrrev_b32_e32 v1, 6, v0
	v_and_b32_e32 v7, 63, v0
	s_mov_b32 s4, 0
	s_waitcnt vmcnt(0)
	v_or_b32_e32 v6, v4, v2
	v_and_b32_e32 v6, 3, v6
	v_cmp_eq_u32_e32 vcc, 0, v6
	v_lshl_or_b32 v6, v1, 9, v7
	s_cbranch_vccnz .LBB14_24
; %bb.14:
	v_lshl_or_b32 v1, v1, 9, v7
	s_mov_b64 s[10:11], -1
	s_cbranch_execnz .LBB14_25
.LBB14_15:
	s_lshr_b32 s4, s20, 2
	s_and_b32 s21, s4, 0x1ffffe00
	v_cmp_gt_u32_e32 vcc, s21, v6
	s_and_saveexec_b64 s[12:13], vcc
	s_cbranch_execz .LBB14_18
; %bb.16:
	v_lshlrev_b32_e32 v10, 4, v6
	v_mov_b32_e32 v11, 0
	v_lshl_add_u64 v[8:9], v[4:5], 0, v[10:11]
	v_lshl_add_u64 v[10:11], v[2:3], 0, v[10:11]
	s_mov_b64 s[14:15], 0
	s_mov_b64 s[16:17], 0x1000
	;; [unrolled: 1-line block ×3, first 2 shown]
	v_mov_b32_e32 v1, v6
.LBB14_17:                              ; =>This Inner Loop Header: Depth=1
	flat_load_dwordx4 v[12:15], v[10:11] nt
	flat_load_dwordx4 v[16:19], v[10:11] offset:1024 nt
	flat_load_dwordx4 v[20:23], v[10:11] offset:2048 nt
	;; [unrolled: 1-line block ×3, first 2 shown]
	v_lshl_add_u64 v[44:45], v[10:11], 0, s[16:17]
	v_add_co_u32_e32 v46, vcc, 0x1000, v10
	v_add_u32_e32 v1, 0x800, v1
	s_nop 0
	v_addc_co_u32_e32 v47, vcc, 0, v11, vcc
	flat_load_dwordx4 v[28:31], v[44:45] offset:1024 nt
	flat_load_dwordx4 v[32:35], v[44:45] offset:2048 nt
	flat_load_dwordx4 v[36:39], v[46:47] nt
	flat_load_dwordx4 v[40:43], v[44:45] offset:3072 nt
	v_add_co_u32_e32 v46, vcc, 0x1000, v8
	v_cmp_le_u32_e64 s[4:5], s21, v1
	v_lshl_add_u64 v[44:45], v[8:9], 0, s[16:17]
	v_lshl_add_u64 v[10:11], v[10:11], 0, s[18:19]
	v_addc_co_u32_e32 v47, vcc, 0, v9, vcc
	s_or_b64 s[14:15], s[4:5], s[14:15]
	s_waitcnt vmcnt(0) lgkmcnt(0)
	flat_store_dwordx4 v[8:9], v[12:15] nt
	flat_store_dwordx4 v[8:9], v[16:19] offset:1024 nt
	flat_store_dwordx4 v[8:9], v[20:23] offset:2048 nt
	;; [unrolled: 1-line block ×3, first 2 shown]
	v_lshl_add_u64 v[8:9], v[8:9], 0, s[18:19]
	flat_store_dwordx4 v[44:45], v[28:31] offset:1024 nt
	flat_store_dwordx4 v[44:45], v[32:35] offset:2048 nt
	flat_store_dwordx4 v[46:47], v[36:39] nt
	flat_store_dwordx4 v[44:45], v[40:43] offset:3072 nt
	s_andn2_b64 exec, exec, s[14:15]
	s_cbranch_execnz .LBB14_17
.LBB14_18:
	s_or_b64 exec, exec, s[12:13]
	s_lshl_b32 s4, s21, 2
	s_cmp_eq_u32 s20, s4
	s_cbranch_scc1 .LBB14_26
; %bb.19:
	s_sub_i32 s18, s20, s4
	s_ashr_i32 s19, s18, 2
	v_cmp_gt_i32_e32 vcc, s19, v0
	s_and_saveexec_b64 s[12:13], vcc
	s_cbranch_execz .LBB14_22
; %bb.20:
	s_mov_b32 s5, 0
	s_lshl_b64 s[14:15], s[4:5], 2
	v_lshl_add_u64 v[8:9], v[4:5], 0, s[14:15]
	v_lshlrev_b32_e32 v10, 4, v0
	v_mov_b32_e32 v11, 0
	v_lshl_add_u64 v[12:13], v[2:3], 0, s[14:15]
	v_lshl_add_u64 v[8:9], v[8:9], 0, v[10:11]
	;; [unrolled: 1-line block ×3, first 2 shown]
	s_mov_b64 s[14:15], 0
	s_mov_b64 s[16:17], 0x1000
	v_mov_b32_e32 v1, v0
.LBB14_21:                              ; =>This Inner Loop Header: Depth=1
	flat_load_dwordx4 v[12:15], v[10:11] nt
	v_add_u32_e32 v1, 0x100, v1
	v_cmp_le_i32_e32 vcc, s19, v1
	v_lshl_add_u64 v[10:11], v[10:11], 0, s[16:17]
	s_or_b64 s[14:15], vcc, s[14:15]
	s_waitcnt vmcnt(0) lgkmcnt(0)
	flat_store_dwordx4 v[8:9], v[12:15]
	v_lshl_add_u64 v[8:9], v[8:9], 0, s[16:17]
	s_andn2_b64 exec, exec, s[14:15]
	s_cbranch_execnz .LBB14_21
.LBB14_22:
	s_or_b64 exec, exec, s[12:13]
	s_and_b32 s16, s20, 3
	s_cmp_eq_u32 s16, 0
	s_cbranch_scc1 .LBB14_27
; %bb.23:
	s_and_b32 s5, s18, -4
	s_add_i32 s4, s5, s4
	s_cbranch_execnz .LBB14_28
	s_branch .LBB14_35
.LBB14_24:
	s_mov_b64 s[10:11], 0
                                        ; implicit-def: $vgpr1
	s_branch .LBB14_15
.LBB14_25:
	s_mov_b32 s16, s20
	v_mov_b32_e32 v6, v1
	s_and_b64 vcc, exec, s[10:11]
	s_cbranch_vccnz .LBB14_28
	s_branch .LBB14_35
.LBB14_26:
                                        ; implicit-def: $sgpr16
.LBB14_27:
                                        ; implicit-def: $sgpr4
	s_and_b64 vcc, exec, s[10:11]
	s_cbranch_vccz .LBB14_35
.LBB14_28:
	s_and_b32 s17, s16, 0x7ffffe00
	v_cmp_gt_u32_e32 vcc, s17, v6
	s_and_saveexec_b64 s[10:11], vcc
	s_cbranch_execz .LBB14_31
; %bb.29:
	s_ashr_i32 s5, s4, 31
	s_lshl_b64 s[12:13], s[4:5], 2
	v_mov_b32_e32 v7, 0
	v_lshl_add_u64 v[8:9], v[4:5], 0, s[12:13]
	v_lshlrev_b64 v[10:11], 2, v[6:7]
	v_lshl_add_u64 v[12:13], v[2:3], 0, s[12:13]
	v_lshl_add_u64 v[8:9], v[8:9], 0, v[10:11]
	;; [unrolled: 1-line block ×3, first 2 shown]
	s_mov_b64 s[12:13], 0
	s_mov_b64 s[14:15], 0x2000
.LBB14_30:                              ; =>This Inner Loop Header: Depth=1
	flat_load_dword v1, v[10:11] nt
	flat_load_dword v7, v[10:11] offset:256 nt
	flat_load_dword v12, v[10:11] offset:512 nt
	;; [unrolled: 1-line block ×7, first 2 shown]
	v_add_u32_e32 v6, 0x800, v6
	v_cmp_le_u32_e32 vcc, s17, v6
	v_lshl_add_u64 v[10:11], v[10:11], 0, s[14:15]
	s_or_b64 s[12:13], vcc, s[12:13]
	s_waitcnt vmcnt(0) lgkmcnt(0)
	flat_store_dword v[8:9], v1 nt
	flat_store_dword v[8:9], v7 offset:256 nt
	flat_store_dword v[8:9], v12 offset:512 nt
	;; [unrolled: 1-line block ×7, first 2 shown]
	v_lshl_add_u64 v[8:9], v[8:9], 0, s[14:15]
	s_andn2_b64 exec, exec, s[12:13]
	s_cbranch_execnz .LBB14_30
.LBB14_31:
	s_or_b64 exec, exec, s[10:11]
	s_and_b32 s14, s16, 0x1ff
	s_cmp_lg_u32 s14, 0
	s_cselect_b64 s[10:11], -1, 0
	v_cmp_gt_u32_e32 vcc, s14, v0
	s_and_b64 s[12:13], s[10:11], vcc
	s_and_saveexec_b64 s[10:11], s[12:13]
	s_cbranch_execz .LBB14_34
; %bb.32:
	s_add_i32 s4, s17, s4
	s_ashr_i32 s5, s4, 31
	s_lshl_b64 s[4:5], s[4:5], 2
	v_lshl_add_u64 v[4:5], v[4:5], 0, s[4:5]
	v_lshlrev_b32_e32 v6, 2, v0
	v_mov_b32_e32 v7, 0
	v_lshl_add_u64 v[2:3], v[2:3], 0, s[4:5]
	v_lshl_add_u64 v[4:5], v[4:5], 0, v[6:7]
	;; [unrolled: 1-line block ×3, first 2 shown]
	s_mov_b64 s[4:5], 0
	s_mov_b64 s[12:13], 0x400
.LBB14_33:                              ; =>This Inner Loop Header: Depth=1
	flat_load_dword v1, v[2:3] nt
	v_add_u32_e32 v0, 0x100, v0
	v_cmp_le_u32_e32 vcc, s14, v0
	v_lshl_add_u64 v[2:3], v[2:3], 0, s[12:13]
	s_or_b64 s[4:5], vcc, s[4:5]
	s_waitcnt vmcnt(0) lgkmcnt(0)
	flat_store_dword v[4:5], v1 nt
	v_lshl_add_u64 v[4:5], v[4:5], 0, s[12:13]
	s_andn2_b64 exec, exec, s[4:5]
	s_cbranch_execnz .LBB14_33
.LBB14_34:
	s_or_b64 exec, exec, s[10:11]
.LBB14_35:
	s_waitcnt lgkmcnt(0)
	s_barrier
	s_and_saveexec_b64 s[4:5], s[0:1]
	s_cbranch_execz .LBB14_40
; %bb.36:
	s_memrealtime s[10:11]
	s_mov_b64 s[4:5], exec
	s_lshl_b64 s[0:1], s[2:3], 3
	v_mbcnt_lo_u32_b32 v0, s4, 0
	s_add_u32 s0, s6, s0
	v_mbcnt_hi_u32_b32 v0, s5, v0
	s_addc_u32 s1, s7, s1
	v_cmp_eq_u32_e32 vcc, 0, v0
	s_and_saveexec_b64 s[2:3], vcc
	s_cbranch_execz .LBB14_38
; %bb.37:
	s_waitcnt lgkmcnt(0)
	s_sub_u32 s6, s10, s8
	s_subb_u32 s7, s11, s9
	s_bcnt1_i32_b64 s4, s[4:5]
	s_mul_i32 s7, s7, s4
	s_mul_hi_u32 s5, s6, s4
	s_add_i32 s5, s5, s7
	s_mul_i32 s6, s6, s4
	v_mov_b32_e32 v0, s6
	v_mov_b32_e32 v1, s5
	;; [unrolled: 1-line block ×3, first 2 shown]
	buffer_wbl2 sc0 sc1
	s_waitcnt vmcnt(0)
	global_atomic_add_x2 v2, v[0:1], s[0:1] sc1
	s_waitcnt vmcnt(0)
	buffer_inv sc0 sc1
.LBB14_38:
	s_or_b64 exec, exec, s[2:3]
	s_mov_b64 s[2:3], exec
	v_mbcnt_lo_u32_b32 v0, s2, 0
	v_mbcnt_hi_u32_b32 v0, s3, v0
	v_cmp_eq_u32_e32 vcc, 0, v0
	s_and_b64 s[4:5], exec, vcc
	s_mov_b64 exec, s[4:5]
	s_cbranch_execz .LBB14_40
; %bb.39:
	s_bcnt1_i32_b64 s2, s[2:3]
	s_mul_hi_i32 s3, s20, s2
	s_mul_i32 s2, s20, s2
	s_lshl_b64 s[2:3], s[2:3], 2
	v_mov_b32_e32 v0, 0
	v_mov_b64_e32 v[2:3], s[2:3]
	buffer_wbl2 sc0 sc1
	s_waitcnt vmcnt(0) lgkmcnt(0)
	global_atomic_add_x2 v0, v[2:3], s[0:1] offset:448 sc1
	s_waitcnt vmcnt(0)
	buffer_inv sc0 sc1
.LBB14_40:
	s_endpgm
	.section	.rodata,"a",@progbits
	.p2align	6, 0x0
	.amdhsa_kernel _Z16flag_sync_kernelILi6ELi1EEvP15transfer_data_tP16profiling_data_tm
		.amdhsa_group_segment_fixed_size 0
		.amdhsa_private_segment_fixed_size 0
		.amdhsa_kernarg_size 24
		.amdhsa_user_sgpr_count 2
		.amdhsa_user_sgpr_dispatch_ptr 0
		.amdhsa_user_sgpr_queue_ptr 0
		.amdhsa_user_sgpr_kernarg_segment_ptr 1
		.amdhsa_user_sgpr_dispatch_id 0
		.amdhsa_user_sgpr_kernarg_preload_length 0
		.amdhsa_user_sgpr_kernarg_preload_offset 0
		.amdhsa_user_sgpr_private_segment_size 0
		.amdhsa_uses_dynamic_stack 0
		.amdhsa_enable_private_segment 0
		.amdhsa_system_sgpr_workgroup_id_x 1
		.amdhsa_system_sgpr_workgroup_id_y 0
		.amdhsa_system_sgpr_workgroup_id_z 0
		.amdhsa_system_sgpr_workgroup_info 0
		.amdhsa_system_vgpr_workitem_id 0
		.amdhsa_next_free_vgpr 48
		.amdhsa_next_free_sgpr 22
		.amdhsa_accum_offset 48
		.amdhsa_reserve_vcc 1
		.amdhsa_float_round_mode_32 0
		.amdhsa_float_round_mode_16_64 0
		.amdhsa_float_denorm_mode_32 3
		.amdhsa_float_denorm_mode_16_64 3
		.amdhsa_dx10_clamp 1
		.amdhsa_ieee_mode 1
		.amdhsa_fp16_overflow 0
		.amdhsa_tg_split 0
		.amdhsa_exception_fp_ieee_invalid_op 0
		.amdhsa_exception_fp_denorm_src 0
		.amdhsa_exception_fp_ieee_div_zero 0
		.amdhsa_exception_fp_ieee_overflow 0
		.amdhsa_exception_fp_ieee_underflow 0
		.amdhsa_exception_fp_ieee_inexact 0
		.amdhsa_exception_int_div_zero 0
	.end_amdhsa_kernel
	.section	.text._Z16flag_sync_kernelILi6ELi1EEvP15transfer_data_tP16profiling_data_tm,"axG",@progbits,_Z16flag_sync_kernelILi6ELi1EEvP15transfer_data_tP16profiling_data_tm,comdat
.Lfunc_end14:
	.size	_Z16flag_sync_kernelILi6ELi1EEvP15transfer_data_tP16profiling_data_tm, .Lfunc_end14-_Z16flag_sync_kernelILi6ELi1EEvP15transfer_data_tP16profiling_data_tm
                                        ; -- End function
	.set _Z16flag_sync_kernelILi6ELi1EEvP15transfer_data_tP16profiling_data_tm.num_vgpr, 48
	.set _Z16flag_sync_kernelILi6ELi1EEvP15transfer_data_tP16profiling_data_tm.num_agpr, 0
	.set _Z16flag_sync_kernelILi6ELi1EEvP15transfer_data_tP16profiling_data_tm.numbered_sgpr, 22
	.set _Z16flag_sync_kernelILi6ELi1EEvP15transfer_data_tP16profiling_data_tm.num_named_barrier, 0
	.set _Z16flag_sync_kernelILi6ELi1EEvP15transfer_data_tP16profiling_data_tm.private_seg_size, 0
	.set _Z16flag_sync_kernelILi6ELi1EEvP15transfer_data_tP16profiling_data_tm.uses_vcc, 1
	.set _Z16flag_sync_kernelILi6ELi1EEvP15transfer_data_tP16profiling_data_tm.uses_flat_scratch, 0
	.set _Z16flag_sync_kernelILi6ELi1EEvP15transfer_data_tP16profiling_data_tm.has_dyn_sized_stack, 0
	.set _Z16flag_sync_kernelILi6ELi1EEvP15transfer_data_tP16profiling_data_tm.has_recursion, 0
	.set _Z16flag_sync_kernelILi6ELi1EEvP15transfer_data_tP16profiling_data_tm.has_indirect_call, 0
	.section	.AMDGPU.csdata,"",@progbits
; Kernel info:
; codeLenInByte = 1624
; TotalNumSgprs: 28
; NumVgprs: 48
; NumAgprs: 0
; TotalNumVgprs: 48
; ScratchSize: 0
; MemoryBound: 0
; FloatMode: 240
; IeeeMode: 1
; LDSByteSize: 0 bytes/workgroup (compile time only)
; SGPRBlocks: 3
; VGPRBlocks: 5
; NumSGPRsForWavesPerEU: 28
; NumVGPRsForWavesPerEU: 48
; AccumOffset: 48
; Occupancy: 8
; WaveLimiterHint : 1
; COMPUTE_PGM_RSRC2:SCRATCH_EN: 0
; COMPUTE_PGM_RSRC2:USER_SGPR: 2
; COMPUTE_PGM_RSRC2:TRAP_HANDLER: 0
; COMPUTE_PGM_RSRC2:TGID_X_EN: 1
; COMPUTE_PGM_RSRC2:TGID_Y_EN: 0
; COMPUTE_PGM_RSRC2:TGID_Z_EN: 0
; COMPUTE_PGM_RSRC2:TIDIG_COMP_CNT: 0
; COMPUTE_PGM_RSRC3_GFX90A:ACCUM_OFFSET: 11
; COMPUTE_PGM_RSRC3_GFX90A:TG_SPLIT: 0
	.text
	.p2alignl 6, 3212836864
	.fill 256, 4, 3212836864
	.section	.AMDGPU.gpr_maximums,"",@progbits
	.set amdgpu.max_num_vgpr, 0
	.set amdgpu.max_num_agpr, 0
	.set amdgpu.max_num_sgpr, 0
	.text
	.type	__hip_cuid_c0d0f01cdbb8aa90,@object ; @__hip_cuid_c0d0f01cdbb8aa90
	.section	.bss,"aw",@nobits
	.globl	__hip_cuid_c0d0f01cdbb8aa90
__hip_cuid_c0d0f01cdbb8aa90:
	.byte	0                               ; 0x0
	.size	__hip_cuid_c0d0f01cdbb8aa90, 1

	.ident	"AMD clang version 22.0.0git (https://github.com/RadeonOpenCompute/llvm-project roc-7.2.4 26084 f58b06dce1f9c15707c5f808fd002e18c2accf7e)"
	.section	".note.GNU-stack","",@progbits
	.addrsig
	.addrsig_sym __hip_cuid_c0d0f01cdbb8aa90
	.amdgpu_metadata
---
amdhsa.kernels:
  - .agpr_count:     0
    .args:
      - .address_space:  global
        .offset:         0
        .size:           8
        .value_kind:     global_buffer
      - .offset:         8
        .size:           8
        .value_kind:     by_value
      - .offset:         16
        .size:           4
        .value_kind:     by_value
      - .offset:         24
        .size:           4
        .value_kind:     hidden_block_count_x
      - .offset:         28
        .size:           4
        .value_kind:     hidden_block_count_y
      - .offset:         32
        .size:           4
        .value_kind:     hidden_block_count_z
      - .offset:         36
        .size:           2
        .value_kind:     hidden_group_size_x
      - .offset:         38
        .size:           2
        .value_kind:     hidden_group_size_y
      - .offset:         40
        .size:           2
        .value_kind:     hidden_group_size_z
      - .offset:         42
        .size:           2
        .value_kind:     hidden_remainder_x
      - .offset:         44
        .size:           2
        .value_kind:     hidden_remainder_y
      - .offset:         46
        .size:           2
        .value_kind:     hidden_remainder_z
      - .offset:         64
        .size:           8
        .value_kind:     hidden_global_offset_x
      - .offset:         72
        .size:           8
        .value_kind:     hidden_global_offset_y
      - .offset:         80
        .size:           8
        .value_kind:     hidden_global_offset_z
      - .offset:         88
        .size:           2
        .value_kind:     hidden_grid_dims
    .group_segment_fixed_size: 0
    .kernarg_segment_align: 8
    .kernarg_segment_size: 280
    .language:       OpenCL C
    .language_version:
      - 2
      - 0
    .max_flat_workgroup_size: 1024
    .name:           _Z18initTestDataKernelPfmi
    .private_segment_fixed_size: 0
    .sgpr_count:     20
    .sgpr_spill_count: 0
    .symbol:         _Z18initTestDataKernelPfmi.kd
    .uniform_work_group_size: 1
    .uses_dynamic_stack: false
    .vgpr_count:     11
    .vgpr_spill_count: 0
    .wavefront_size: 64
  - .agpr_count:     0
    .args:
      - .address_space:  global
        .offset:         0
        .size:           8
        .value_kind:     global_buffer
      - .address_space:  global
        .offset:         8
        .size:           8
        .value_kind:     global_buffer
      - .offset:         16
        .size:           8
        .value_kind:     by_value
    .group_segment_fixed_size: 0
    .kernarg_segment_align: 8
    .kernarg_segment_size: 24
    .language:       OpenCL C
    .language_version:
      - 2
      - 0
    .max_flat_workgroup_size: 1024
    .name:           _Z16flag_sync_kernelILi0ELi0EEvP15transfer_data_tP16profiling_data_tm
    .private_segment_fixed_size: 0
    .sgpr_count:     28
    .sgpr_spill_count: 0
    .symbol:         _Z16flag_sync_kernelILi0ELi0EEvP15transfer_data_tP16profiling_data_tm.kd
    .uniform_work_group_size: 1
    .uses_dynamic_stack: false
    .vgpr_count:     48
    .vgpr_spill_count: 0
    .wavefront_size: 64
  - .agpr_count:     0
    .args:
      - .address_space:  global
        .offset:         0
        .size:           8
        .value_kind:     global_buffer
      - .address_space:  global
        .offset:         8
        .size:           8
        .value_kind:     global_buffer
      - .offset:         16
        .size:           8
        .value_kind:     by_value
    .group_segment_fixed_size: 0
    .kernarg_segment_align: 8
    .kernarg_segment_size: 24
    .language:       OpenCL C
    .language_version:
      - 2
      - 0
    .max_flat_workgroup_size: 1024
    .name:           _Z16flag_sync_kernelILi0ELi1EEvP15transfer_data_tP16profiling_data_tm
    .private_segment_fixed_size: 0
    .sgpr_count:     28
    .sgpr_spill_count: 0
    .symbol:         _Z16flag_sync_kernelILi0ELi1EEvP15transfer_data_tP16profiling_data_tm.kd
    .uniform_work_group_size: 1
    .uses_dynamic_stack: false
    .vgpr_count:     48
    .vgpr_spill_count: 0
    .wavefront_size: 64
  - .agpr_count:     0
    .args:
      - .address_space:  global
        .offset:         0
        .size:           8
        .value_kind:     global_buffer
      - .address_space:  global
        .offset:         8
        .size:           8
        .value_kind:     global_buffer
      - .offset:         16
        .size:           8
        .value_kind:     by_value
    .group_segment_fixed_size: 0
    .kernarg_segment_align: 8
    .kernarg_segment_size: 24
    .language:       OpenCL C
    .language_version:
      - 2
      - 0
    .max_flat_workgroup_size: 1024
    .name:           _Z16flag_sync_kernelILi1ELi0EEvP15transfer_data_tP16profiling_data_tm
    .private_segment_fixed_size: 0
    .sgpr_count:     28
    .sgpr_spill_count: 0
    .symbol:         _Z16flag_sync_kernelILi1ELi0EEvP15transfer_data_tP16profiling_data_tm.kd
    .uniform_work_group_size: 1
    .uses_dynamic_stack: false
    .vgpr_count:     48
    .vgpr_spill_count: 0
    .wavefront_size: 64
  - .agpr_count:     0
    .args:
      - .address_space:  global
        .offset:         0
        .size:           8
        .value_kind:     global_buffer
      - .address_space:  global
        .offset:         8
        .size:           8
        .value_kind:     global_buffer
      - .offset:         16
        .size:           8
        .value_kind:     by_value
    .group_segment_fixed_size: 0
    .kernarg_segment_align: 8
    .kernarg_segment_size: 24
    .language:       OpenCL C
    .language_version:
      - 2
      - 0
    .max_flat_workgroup_size: 1024
    .name:           _Z16flag_sync_kernelILi1ELi1EEvP15transfer_data_tP16profiling_data_tm
    .private_segment_fixed_size: 0
    .sgpr_count:     28
    .sgpr_spill_count: 0
    .symbol:         _Z16flag_sync_kernelILi1ELi1EEvP15transfer_data_tP16profiling_data_tm.kd
    .uniform_work_group_size: 1
    .uses_dynamic_stack: false
    .vgpr_count:     48
    .vgpr_spill_count: 0
    .wavefront_size: 64
  - .agpr_count:     0
    .args:
      - .address_space:  global
        .offset:         0
        .size:           8
        .value_kind:     global_buffer
      - .address_space:  global
        .offset:         8
        .size:           8
        .value_kind:     global_buffer
      - .offset:         16
        .size:           8
        .value_kind:     by_value
    .group_segment_fixed_size: 0
    .kernarg_segment_align: 8
    .kernarg_segment_size: 24
    .language:       OpenCL C
    .language_version:
      - 2
      - 0
    .max_flat_workgroup_size: 1024
    .name:           _Z16flag_sync_kernelILi2ELi0EEvP15transfer_data_tP16profiling_data_tm
    .private_segment_fixed_size: 0
    .sgpr_count:     27
    .sgpr_spill_count: 0
    .symbol:         _Z16flag_sync_kernelILi2ELi0EEvP15transfer_data_tP16profiling_data_tm.kd
    .uniform_work_group_size: 1
    .uses_dynamic_stack: false
    .vgpr_count:     32
    .vgpr_spill_count: 0
    .wavefront_size: 64
  - .agpr_count:     0
    .args:
      - .address_space:  global
        .offset:         0
        .size:           8
        .value_kind:     global_buffer
      - .address_space:  global
        .offset:         8
        .size:           8
        .value_kind:     global_buffer
      - .offset:         16
        .size:           8
        .value_kind:     by_value
    .group_segment_fixed_size: 0
    .kernarg_segment_align: 8
    .kernarg_segment_size: 24
    .language:       OpenCL C
    .language_version:
      - 2
      - 0
    .max_flat_workgroup_size: 1024
    .name:           _Z16flag_sync_kernelILi2ELi1EEvP15transfer_data_tP16profiling_data_tm
    .private_segment_fixed_size: 0
    .sgpr_count:     27
    .sgpr_spill_count: 0
    .symbol:         _Z16flag_sync_kernelILi2ELi1EEvP15transfer_data_tP16profiling_data_tm.kd
    .uniform_work_group_size: 1
    .uses_dynamic_stack: false
    .vgpr_count:     32
    .vgpr_spill_count: 0
    .wavefront_size: 64
  - .agpr_count:     0
    .args:
      - .address_space:  global
        .offset:         0
        .size:           8
        .value_kind:     global_buffer
      - .address_space:  global
        .offset:         8
        .size:           8
        .value_kind:     global_buffer
      - .offset:         16
        .size:           8
        .value_kind:     by_value
    .group_segment_fixed_size: 0
    .kernarg_segment_align: 8
    .kernarg_segment_size: 24
    .language:       OpenCL C
    .language_version:
      - 2
      - 0
    .max_flat_workgroup_size: 1024
    .name:           _Z16flag_sync_kernelILi3ELi0EEvP15transfer_data_tP16profiling_data_tm
    .private_segment_fixed_size: 0
    .sgpr_count:     27
    .sgpr_spill_count: 0
    .symbol:         _Z16flag_sync_kernelILi3ELi0EEvP15transfer_data_tP16profiling_data_tm.kd
    .uniform_work_group_size: 1
    .uses_dynamic_stack: false
    .vgpr_count:     32
    .vgpr_spill_count: 0
    .wavefront_size: 64
  - .agpr_count:     0
    .args:
      - .address_space:  global
        .offset:         0
        .size:           8
        .value_kind:     global_buffer
      - .address_space:  global
        .offset:         8
        .size:           8
        .value_kind:     global_buffer
      - .offset:         16
        .size:           8
        .value_kind:     by_value
    .group_segment_fixed_size: 0
    .kernarg_segment_align: 8
    .kernarg_segment_size: 24
    .language:       OpenCL C
    .language_version:
      - 2
      - 0
    .max_flat_workgroup_size: 1024
    .name:           _Z16flag_sync_kernelILi3ELi1EEvP15transfer_data_tP16profiling_data_tm
    .private_segment_fixed_size: 0
    .sgpr_count:     27
    .sgpr_spill_count: 0
    .symbol:         _Z16flag_sync_kernelILi3ELi1EEvP15transfer_data_tP16profiling_data_tm.kd
    .uniform_work_group_size: 1
    .uses_dynamic_stack: false
    .vgpr_count:     32
    .vgpr_spill_count: 0
    .wavefront_size: 64
  - .agpr_count:     0
    .args:
      - .address_space:  global
        .offset:         0
        .size:           8
        .value_kind:     global_buffer
      - .address_space:  global
        .offset:         8
        .size:           8
        .value_kind:     global_buffer
      - .offset:         16
        .size:           8
        .value_kind:     by_value
    .group_segment_fixed_size: 0
    .kernarg_segment_align: 8
    .kernarg_segment_size: 24
    .language:       OpenCL C
    .language_version:
      - 2
      - 0
    .max_flat_workgroup_size: 1024
    .name:           _Z16flag_sync_kernelILi4ELi0EEvP15transfer_data_tP16profiling_data_tm
    .private_segment_fixed_size: 0
    .sgpr_count:     27
    .sgpr_spill_count: 0
    .symbol:         _Z16flag_sync_kernelILi4ELi0EEvP15transfer_data_tP16profiling_data_tm.kd
    .uniform_work_group_size: 1
    .uses_dynamic_stack: false
    .vgpr_count:     48
    .vgpr_spill_count: 0
    .wavefront_size: 64
  - .agpr_count:     0
    .args:
      - .address_space:  global
        .offset:         0
        .size:           8
        .value_kind:     global_buffer
      - .address_space:  global
        .offset:         8
        .size:           8
        .value_kind:     global_buffer
      - .offset:         16
        .size:           8
        .value_kind:     by_value
    .group_segment_fixed_size: 0
    .kernarg_segment_align: 8
    .kernarg_segment_size: 24
    .language:       OpenCL C
    .language_version:
      - 2
      - 0
    .max_flat_workgroup_size: 1024
    .name:           _Z16flag_sync_kernelILi4ELi1EEvP15transfer_data_tP16profiling_data_tm
    .private_segment_fixed_size: 0
    .sgpr_count:     27
    .sgpr_spill_count: 0
    .symbol:         _Z16flag_sync_kernelILi4ELi1EEvP15transfer_data_tP16profiling_data_tm.kd
    .uniform_work_group_size: 1
    .uses_dynamic_stack: false
    .vgpr_count:     48
    .vgpr_spill_count: 0
    .wavefront_size: 64
  - .agpr_count:     0
    .args:
      - .address_space:  global
        .offset:         0
        .size:           8
        .value_kind:     global_buffer
      - .address_space:  global
        .offset:         8
        .size:           8
        .value_kind:     global_buffer
      - .offset:         16
        .size:           8
        .value_kind:     by_value
    .group_segment_fixed_size: 0
    .kernarg_segment_align: 8
    .kernarg_segment_size: 24
    .language:       OpenCL C
    .language_version:
      - 2
      - 0
    .max_flat_workgroup_size: 1024
    .name:           _Z16flag_sync_kernelILi5ELi0EEvP15transfer_data_tP16profiling_data_tm
    .private_segment_fixed_size: 0
    .sgpr_count:     27
    .sgpr_spill_count: 0
    .symbol:         _Z16flag_sync_kernelILi5ELi0EEvP15transfer_data_tP16profiling_data_tm.kd
    .uniform_work_group_size: 1
    .uses_dynamic_stack: false
    .vgpr_count:     52
    .vgpr_spill_count: 0
    .wavefront_size: 64
  - .agpr_count:     0
    .args:
      - .address_space:  global
        .offset:         0
        .size:           8
        .value_kind:     global_buffer
      - .address_space:  global
        .offset:         8
        .size:           8
        .value_kind:     global_buffer
      - .offset:         16
        .size:           8
        .value_kind:     by_value
    .group_segment_fixed_size: 0
    .kernarg_segment_align: 8
    .kernarg_segment_size: 24
    .language:       OpenCL C
    .language_version:
      - 2
      - 0
    .max_flat_workgroup_size: 1024
    .name:           _Z16flag_sync_kernelILi5ELi1EEvP15transfer_data_tP16profiling_data_tm
    .private_segment_fixed_size: 0
    .sgpr_count:     27
    .sgpr_spill_count: 0
    .symbol:         _Z16flag_sync_kernelILi5ELi1EEvP15transfer_data_tP16profiling_data_tm.kd
    .uniform_work_group_size: 1
    .uses_dynamic_stack: false
    .vgpr_count:     52
    .vgpr_spill_count: 0
    .wavefront_size: 64
  - .agpr_count:     0
    .args:
      - .address_space:  global
        .offset:         0
        .size:           8
        .value_kind:     global_buffer
      - .address_space:  global
        .offset:         8
        .size:           8
        .value_kind:     global_buffer
      - .offset:         16
        .size:           8
        .value_kind:     by_value
    .group_segment_fixed_size: 0
    .kernarg_segment_align: 8
    .kernarg_segment_size: 24
    .language:       OpenCL C
    .language_version:
      - 2
      - 0
    .max_flat_workgroup_size: 1024
    .name:           _Z16flag_sync_kernelILi6ELi0EEvP15transfer_data_tP16profiling_data_tm
    .private_segment_fixed_size: 0
    .sgpr_count:     28
    .sgpr_spill_count: 0
    .symbol:         _Z16flag_sync_kernelILi6ELi0EEvP15transfer_data_tP16profiling_data_tm.kd
    .uniform_work_group_size: 1
    .uses_dynamic_stack: false
    .vgpr_count:     48
    .vgpr_spill_count: 0
    .wavefront_size: 64
  - .agpr_count:     0
    .args:
      - .address_space:  global
        .offset:         0
        .size:           8
        .value_kind:     global_buffer
      - .address_space:  global
        .offset:         8
        .size:           8
        .value_kind:     global_buffer
      - .offset:         16
        .size:           8
        .value_kind:     by_value
    .group_segment_fixed_size: 0
    .kernarg_segment_align: 8
    .kernarg_segment_size: 24
    .language:       OpenCL C
    .language_version:
      - 2
      - 0
    .max_flat_workgroup_size: 1024
    .name:           _Z16flag_sync_kernelILi6ELi1EEvP15transfer_data_tP16profiling_data_tm
    .private_segment_fixed_size: 0
    .sgpr_count:     28
    .sgpr_spill_count: 0
    .symbol:         _Z16flag_sync_kernelILi6ELi1EEvP15transfer_data_tP16profiling_data_tm.kd
    .uniform_work_group_size: 1
    .uses_dynamic_stack: false
    .vgpr_count:     48
    .vgpr_spill_count: 0
    .wavefront_size: 64
amdhsa.target:   amdgcn-amd-amdhsa--gfx950
amdhsa.version:
  - 1
  - 2
...

	.end_amdgpu_metadata
